;; amdgpu-corpus repo=ROCm/rocSPARSE kind=compiled arch=gfx90a opt=O3
	.text
	.amdgcn_target "amdgcn-amd-amdhsa--gfx90a"
	.amdhsa_code_object_version 6
	.section	.text._ZN9rocsparseL12ell2csr_fillILj256EfiiEEvT2_S1_S1_PKS1_PKT0_21rocsparse_index_base_PKT1_PS1_PS4_S7_,"axG",@progbits,_ZN9rocsparseL12ell2csr_fillILj256EfiiEEvT2_S1_S1_PKS1_PKT0_21rocsparse_index_base_PKT1_PS1_PS4_S7_,comdat
	.globl	_ZN9rocsparseL12ell2csr_fillILj256EfiiEEvT2_S1_S1_PKS1_PKT0_21rocsparse_index_base_PKT1_PS1_PS4_S7_ ; -- Begin function _ZN9rocsparseL12ell2csr_fillILj256EfiiEEvT2_S1_S1_PKS1_PKT0_21rocsparse_index_base_PKT1_PS1_PS4_S7_
	.p2align	8
	.type	_ZN9rocsparseL12ell2csr_fillILj256EfiiEEvT2_S1_S1_PKS1_PKT0_21rocsparse_index_base_PKT1_PS1_PS4_S7_,@function
_ZN9rocsparseL12ell2csr_fillILj256EfiiEEvT2_S1_S1_PKS1_PKT0_21rocsparse_index_base_PKT1_PS1_PS4_S7_: ; @_ZN9rocsparseL12ell2csr_fillILj256EfiiEEvT2_S1_S1_PKS1_PKT0_21rocsparse_index_base_PKT1_PS1_PS4_S7_
; %bb.0:
	s_load_dwordx4 s[8:11], s[4:5], 0x0
	v_lshl_or_b32 v0, s6, 8, v0
	s_waitcnt lgkmcnt(0)
	s_cmp_gt_i32 s10, 0
	v_cmp_gt_i32_e32 vcc, s8, v0
	s_cselect_b64 s[0:1], -1, 0
	s_and_b64 s[0:1], vcc, s[0:1]
	s_and_saveexec_b64 s[2:3], s[0:1]
	s_cbranch_execz .LBB0_5
; %bb.1:
	s_load_dwordx4 s[0:3], s[4:5], 0x28
	s_load_dwordx2 s[6:7], s[4:5], 0x38
	v_ashrrev_i32_e32 v1, 31, v0
	v_lshlrev_b64 v[2:3], 2, v[0:1]
	s_add_i32 s18, s10, -1
	s_waitcnt lgkmcnt(0)
	v_mov_b32_e32 v1, s1
	v_add_co_u32_e32 v2, vcc, s0, v2
	v_addc_co_u32_e32 v3, vcc, v1, v3, vcc
	global_load_dword v1, v[2:3], off
	s_load_dword s16, s[4:5], 0x40
	s_load_dwordx4 s[12:15], s[4:5], 0x10
	s_load_dword s17, s[4:5], 0x20
	s_mov_b64 s[4:5], 0
	s_waitcnt lgkmcnt(0)
	v_mov_b32_e32 v6, s13
	s_waitcnt vmcnt(0)
	v_subrev_u32_e32 v2, s16, v1
	s_branch .LBB0_3
.LBB0_2:                                ;   in Loop: Header=BB0_3 Depth=1
	s_or_b64 exec, exec, s[10:11]
	s_cmp_eq_u32 s18, 0
	s_cselect_b64 s[10:11], -1, 0
	s_or_b64 s[0:1], s[0:1], s[10:11]
	s_add_i32 s18, s18, -1
	s_and_b64 s[0:1], exec, s[0:1]
	s_or_b64 s[4:5], s[0:1], s[4:5]
	v_add_u32_e32 v0, s8, v0
	s_andn2_b64 exec, exec, s[4:5]
	s_cbranch_execz .LBB0_5
.LBB0_3:                                ; =>This Inner Loop Header: Depth=1
	v_ashrrev_i32_e32 v1, 31, v0
	v_lshlrev_b64 v[4:5], 2, v[0:1]
	v_add_co_u32_e32 v8, vcc, s12, v4
	v_addc_co_u32_e32 v9, vcc, v6, v5, vcc
	global_load_dword v1, v[8:9], off
	s_waitcnt vmcnt(0)
	v_subrev_u32_e32 v1, s17, v1
	v_cmp_gt_i32_e32 vcc, 0, v1
	v_cmp_le_i32_e64 s[0:1], s9, v1
	s_or_b64 s[0:1], vcc, s[0:1]
	s_xor_b64 s[20:21], s[0:1], -1
	s_and_saveexec_b64 s[10:11], s[20:21]
	s_cbranch_execz .LBB0_2
; %bb.4:                                ;   in Loop: Header=BB0_3 Depth=1
	v_mov_b32_e32 v3, s15
	v_add_co_u32_e32 v4, vcc, s14, v4
	v_addc_co_u32_e32 v5, vcc, v3, v5, vcc
	global_load_dword v7, v[4:5], off
	v_ashrrev_i32_e32 v3, 31, v2
	v_add_u32_e32 v8, 1, v2
	v_lshlrev_b64 v[2:3], 2, v[2:3]
	v_mov_b32_e32 v5, s7
	v_add_co_u32_e32 v4, vcc, s6, v2
	v_addc_co_u32_e32 v5, vcc, v5, v3, vcc
	v_mov_b32_e32 v9, s3
	v_add_co_u32_e32 v2, vcc, s2, v2
	v_add_u32_e32 v1, s16, v1
	v_addc_co_u32_e32 v3, vcc, v9, v3, vcc
	global_store_dword v[2:3], v1, off
	s_waitcnt vmcnt(1)
	global_store_dword v[4:5], v7, off
	v_mov_b32_e32 v2, v8
	s_branch .LBB0_2
.LBB0_5:
	s_endpgm
	.section	.rodata,"a",@progbits
	.p2align	6, 0x0
	.amdhsa_kernel _ZN9rocsparseL12ell2csr_fillILj256EfiiEEvT2_S1_S1_PKS1_PKT0_21rocsparse_index_base_PKT1_PS1_PS4_S7_
		.amdhsa_group_segment_fixed_size 0
		.amdhsa_private_segment_fixed_size 0
		.amdhsa_kernarg_size 68
		.amdhsa_user_sgpr_count 6
		.amdhsa_user_sgpr_private_segment_buffer 1
		.amdhsa_user_sgpr_dispatch_ptr 0
		.amdhsa_user_sgpr_queue_ptr 0
		.amdhsa_user_sgpr_kernarg_segment_ptr 1
		.amdhsa_user_sgpr_dispatch_id 0
		.amdhsa_user_sgpr_flat_scratch_init 0
		.amdhsa_user_sgpr_kernarg_preload_length 0
		.amdhsa_user_sgpr_kernarg_preload_offset 0
		.amdhsa_user_sgpr_private_segment_size 0
		.amdhsa_uses_dynamic_stack 0
		.amdhsa_system_sgpr_private_segment_wavefront_offset 0
		.amdhsa_system_sgpr_workgroup_id_x 1
		.amdhsa_system_sgpr_workgroup_id_y 0
		.amdhsa_system_sgpr_workgroup_id_z 0
		.amdhsa_system_sgpr_workgroup_info 0
		.amdhsa_system_vgpr_workitem_id 0
		.amdhsa_next_free_vgpr 10
		.amdhsa_next_free_sgpr 22
		.amdhsa_accum_offset 12
		.amdhsa_reserve_vcc 1
		.amdhsa_reserve_flat_scratch 0
		.amdhsa_float_round_mode_32 0
		.amdhsa_float_round_mode_16_64 0
		.amdhsa_float_denorm_mode_32 3
		.amdhsa_float_denorm_mode_16_64 3
		.amdhsa_dx10_clamp 1
		.amdhsa_ieee_mode 1
		.amdhsa_fp16_overflow 0
		.amdhsa_tg_split 0
		.amdhsa_exception_fp_ieee_invalid_op 0
		.amdhsa_exception_fp_denorm_src 0
		.amdhsa_exception_fp_ieee_div_zero 0
		.amdhsa_exception_fp_ieee_overflow 0
		.amdhsa_exception_fp_ieee_underflow 0
		.amdhsa_exception_fp_ieee_inexact 0
		.amdhsa_exception_int_div_zero 0
	.end_amdhsa_kernel
	.section	.text._ZN9rocsparseL12ell2csr_fillILj256EfiiEEvT2_S1_S1_PKS1_PKT0_21rocsparse_index_base_PKT1_PS1_PS4_S7_,"axG",@progbits,_ZN9rocsparseL12ell2csr_fillILj256EfiiEEvT2_S1_S1_PKS1_PKT0_21rocsparse_index_base_PKT1_PS1_PS4_S7_,comdat
.Lfunc_end0:
	.size	_ZN9rocsparseL12ell2csr_fillILj256EfiiEEvT2_S1_S1_PKS1_PKT0_21rocsparse_index_base_PKT1_PS1_PS4_S7_, .Lfunc_end0-_ZN9rocsparseL12ell2csr_fillILj256EfiiEEvT2_S1_S1_PKS1_PKT0_21rocsparse_index_base_PKT1_PS1_PS4_S7_
                                        ; -- End function
	.section	.AMDGPU.csdata,"",@progbits
; Kernel info:
; codeLenInByte = 348
; NumSgprs: 26
; NumVgprs: 10
; NumAgprs: 0
; TotalNumVgprs: 10
; ScratchSize: 0
; MemoryBound: 0
; FloatMode: 240
; IeeeMode: 1
; LDSByteSize: 0 bytes/workgroup (compile time only)
; SGPRBlocks: 3
; VGPRBlocks: 1
; NumSGPRsForWavesPerEU: 26
; NumVGPRsForWavesPerEU: 10
; AccumOffset: 12
; Occupancy: 8
; WaveLimiterHint : 0
; COMPUTE_PGM_RSRC2:SCRATCH_EN: 0
; COMPUTE_PGM_RSRC2:USER_SGPR: 6
; COMPUTE_PGM_RSRC2:TRAP_HANDLER: 0
; COMPUTE_PGM_RSRC2:TGID_X_EN: 1
; COMPUTE_PGM_RSRC2:TGID_Y_EN: 0
; COMPUTE_PGM_RSRC2:TGID_Z_EN: 0
; COMPUTE_PGM_RSRC2:TIDIG_COMP_CNT: 0
; COMPUTE_PGM_RSRC3_GFX90A:ACCUM_OFFSET: 2
; COMPUTE_PGM_RSRC3_GFX90A:TG_SPLIT: 0
	.section	.text._ZN9rocsparseL12ell2csr_fillILj256E21rocsparse_complex_numIfEiiEEvT2_S3_S3_PKS3_PKT0_21rocsparse_index_base_PKT1_PS3_PS6_S9_,"axG",@progbits,_ZN9rocsparseL12ell2csr_fillILj256E21rocsparse_complex_numIfEiiEEvT2_S3_S3_PKS3_PKT0_21rocsparse_index_base_PKT1_PS3_PS6_S9_,comdat
	.globl	_ZN9rocsparseL12ell2csr_fillILj256E21rocsparse_complex_numIfEiiEEvT2_S3_S3_PKS3_PKT0_21rocsparse_index_base_PKT1_PS3_PS6_S9_ ; -- Begin function _ZN9rocsparseL12ell2csr_fillILj256E21rocsparse_complex_numIfEiiEEvT2_S3_S3_PKS3_PKT0_21rocsparse_index_base_PKT1_PS3_PS6_S9_
	.p2align	8
	.type	_ZN9rocsparseL12ell2csr_fillILj256E21rocsparse_complex_numIfEiiEEvT2_S3_S3_PKS3_PKT0_21rocsparse_index_base_PKT1_PS3_PS6_S9_,@function
_ZN9rocsparseL12ell2csr_fillILj256E21rocsparse_complex_numIfEiiEEvT2_S3_S3_PKS3_PKT0_21rocsparse_index_base_PKT1_PS3_PS6_S9_: ; @_ZN9rocsparseL12ell2csr_fillILj256E21rocsparse_complex_numIfEiiEEvT2_S3_S3_PKS3_PKT0_21rocsparse_index_base_PKT1_PS3_PS6_S9_
; %bb.0:
	s_load_dwordx4 s[8:11], s[4:5], 0x0
	v_lshl_or_b32 v0, s6, 8, v0
	s_waitcnt lgkmcnt(0)
	s_cmp_gt_i32 s10, 0
	v_cmp_gt_i32_e32 vcc, s8, v0
	s_cselect_b64 s[0:1], -1, 0
	s_and_b64 s[0:1], vcc, s[0:1]
	s_and_saveexec_b64 s[2:3], s[0:1]
	s_cbranch_execz .LBB1_5
; %bb.1:
	s_load_dwordx4 s[0:3], s[4:5], 0x28
	s_load_dwordx2 s[6:7], s[4:5], 0x38
	v_ashrrev_i32_e32 v1, 31, v0
	v_lshlrev_b64 v[2:3], 2, v[0:1]
	s_add_i32 s18, s10, -1
	s_waitcnt lgkmcnt(0)
	v_mov_b32_e32 v1, s1
	v_add_co_u32_e32 v2, vcc, s0, v2
	v_addc_co_u32_e32 v3, vcc, v1, v3, vcc
	global_load_dword v1, v[2:3], off
	s_load_dword s16, s[4:5], 0x40
	s_load_dwordx4 s[12:15], s[4:5], 0x10
	s_load_dword s17, s[4:5], 0x20
	s_mov_b64 s[4:5], 0
	s_waitcnt lgkmcnt(0)
	v_mov_b32_e32 v4, s13
	s_waitcnt vmcnt(0)
	v_subrev_u32_e32 v2, s16, v1
	s_branch .LBB1_3
.LBB1_2:                                ;   in Loop: Header=BB1_3 Depth=1
	s_or_b64 exec, exec, s[10:11]
	s_cmp_eq_u32 s18, 0
	s_cselect_b64 s[10:11], -1, 0
	s_or_b64 s[0:1], s[0:1], s[10:11]
	s_add_i32 s18, s18, -1
	s_and_b64 s[0:1], exec, s[0:1]
	s_or_b64 s[4:5], s[0:1], s[4:5]
	v_add_u32_e32 v0, s8, v0
	s_andn2_b64 exec, exec, s[4:5]
	s_cbranch_execz .LBB1_5
.LBB1_3:                                ; =>This Inner Loop Header: Depth=1
	v_ashrrev_i32_e32 v1, 31, v0
	v_lshlrev_b64 v[6:7], 2, v[0:1]
	v_add_co_u32_e32 v6, vcc, s12, v6
	v_addc_co_u32_e32 v7, vcc, v4, v7, vcc
	global_load_dword v3, v[6:7], off
	s_waitcnt vmcnt(0)
	v_subrev_u32_e32 v5, s17, v3
	v_cmp_gt_i32_e32 vcc, 0, v5
	v_cmp_le_i32_e64 s[0:1], s9, v5
	s_or_b64 s[0:1], vcc, s[0:1]
	s_xor_b64 s[20:21], s[0:1], -1
	s_and_saveexec_b64 s[10:11], s[20:21]
	s_cbranch_execz .LBB1_2
; %bb.4:                                ;   in Loop: Header=BB1_3 Depth=1
	v_lshlrev_b64 v[6:7], 3, v[0:1]
	v_mov_b32_e32 v1, s15
	v_add_co_u32_e32 v6, vcc, s14, v6
	v_addc_co_u32_e32 v7, vcc, v1, v7, vcc
	global_load_dwordx2 v[6:7], v[6:7], off
	v_ashrrev_i32_e32 v3, 31, v2
	v_lshlrev_b64 v[8:9], 3, v[2:3]
	v_mov_b32_e32 v10, s7
	v_add_co_u32_e32 v8, vcc, s6, v8
	v_add_u32_e32 v1, 1, v2
	v_lshlrev_b64 v[2:3], 2, v[2:3]
	v_addc_co_u32_e32 v9, vcc, v10, v9, vcc
	v_mov_b32_e32 v11, s3
	v_add_co_u32_e32 v2, vcc, s2, v2
	v_add_u32_e32 v5, s16, v5
	v_addc_co_u32_e32 v3, vcc, v11, v3, vcc
	global_store_dword v[2:3], v5, off
	s_waitcnt vmcnt(1)
	global_store_dwordx2 v[8:9], v[6:7], off
	v_mov_b32_e32 v2, v1
	s_branch .LBB1_2
.LBB1_5:
	s_endpgm
	.section	.rodata,"a",@progbits
	.p2align	6, 0x0
	.amdhsa_kernel _ZN9rocsparseL12ell2csr_fillILj256E21rocsparse_complex_numIfEiiEEvT2_S3_S3_PKS3_PKT0_21rocsparse_index_base_PKT1_PS3_PS6_S9_
		.amdhsa_group_segment_fixed_size 0
		.amdhsa_private_segment_fixed_size 0
		.amdhsa_kernarg_size 68
		.amdhsa_user_sgpr_count 6
		.amdhsa_user_sgpr_private_segment_buffer 1
		.amdhsa_user_sgpr_dispatch_ptr 0
		.amdhsa_user_sgpr_queue_ptr 0
		.amdhsa_user_sgpr_kernarg_segment_ptr 1
		.amdhsa_user_sgpr_dispatch_id 0
		.amdhsa_user_sgpr_flat_scratch_init 0
		.amdhsa_user_sgpr_kernarg_preload_length 0
		.amdhsa_user_sgpr_kernarg_preload_offset 0
		.amdhsa_user_sgpr_private_segment_size 0
		.amdhsa_uses_dynamic_stack 0
		.amdhsa_system_sgpr_private_segment_wavefront_offset 0
		.amdhsa_system_sgpr_workgroup_id_x 1
		.amdhsa_system_sgpr_workgroup_id_y 0
		.amdhsa_system_sgpr_workgroup_id_z 0
		.amdhsa_system_sgpr_workgroup_info 0
		.amdhsa_system_vgpr_workitem_id 0
		.amdhsa_next_free_vgpr 12
		.amdhsa_next_free_sgpr 22
		.amdhsa_accum_offset 12
		.amdhsa_reserve_vcc 1
		.amdhsa_reserve_flat_scratch 0
		.amdhsa_float_round_mode_32 0
		.amdhsa_float_round_mode_16_64 0
		.amdhsa_float_denorm_mode_32 3
		.amdhsa_float_denorm_mode_16_64 3
		.amdhsa_dx10_clamp 1
		.amdhsa_ieee_mode 1
		.amdhsa_fp16_overflow 0
		.amdhsa_tg_split 0
		.amdhsa_exception_fp_ieee_invalid_op 0
		.amdhsa_exception_fp_denorm_src 0
		.amdhsa_exception_fp_ieee_div_zero 0
		.amdhsa_exception_fp_ieee_overflow 0
		.amdhsa_exception_fp_ieee_underflow 0
		.amdhsa_exception_fp_ieee_inexact 0
		.amdhsa_exception_int_div_zero 0
	.end_amdhsa_kernel
	.section	.text._ZN9rocsparseL12ell2csr_fillILj256E21rocsparse_complex_numIfEiiEEvT2_S3_S3_PKS3_PKT0_21rocsparse_index_base_PKT1_PS3_PS6_S9_,"axG",@progbits,_ZN9rocsparseL12ell2csr_fillILj256E21rocsparse_complex_numIfEiiEEvT2_S3_S3_PKS3_PKT0_21rocsparse_index_base_PKT1_PS3_PS6_S9_,comdat
.Lfunc_end1:
	.size	_ZN9rocsparseL12ell2csr_fillILj256E21rocsparse_complex_numIfEiiEEvT2_S3_S3_PKS3_PKT0_21rocsparse_index_base_PKT1_PS3_PS6_S9_, .Lfunc_end1-_ZN9rocsparseL12ell2csr_fillILj256E21rocsparse_complex_numIfEiiEEvT2_S3_S3_PKS3_PKT0_21rocsparse_index_base_PKT1_PS3_PS6_S9_
                                        ; -- End function
	.section	.AMDGPU.csdata,"",@progbits
; Kernel info:
; codeLenInByte = 364
; NumSgprs: 26
; NumVgprs: 12
; NumAgprs: 0
; TotalNumVgprs: 12
; ScratchSize: 0
; MemoryBound: 0
; FloatMode: 240
; IeeeMode: 1
; LDSByteSize: 0 bytes/workgroup (compile time only)
; SGPRBlocks: 3
; VGPRBlocks: 1
; NumSGPRsForWavesPerEU: 26
; NumVGPRsForWavesPerEU: 12
; AccumOffset: 12
; Occupancy: 8
; WaveLimiterHint : 0
; COMPUTE_PGM_RSRC2:SCRATCH_EN: 0
; COMPUTE_PGM_RSRC2:USER_SGPR: 6
; COMPUTE_PGM_RSRC2:TRAP_HANDLER: 0
; COMPUTE_PGM_RSRC2:TGID_X_EN: 1
; COMPUTE_PGM_RSRC2:TGID_Y_EN: 0
; COMPUTE_PGM_RSRC2:TGID_Z_EN: 0
; COMPUTE_PGM_RSRC2:TIDIG_COMP_CNT: 0
; COMPUTE_PGM_RSRC3_GFX90A:ACCUM_OFFSET: 2
; COMPUTE_PGM_RSRC3_GFX90A:TG_SPLIT: 0
	.section	.text._ZN9rocsparseL12ell2csr_fillILj256EdiiEEvT2_S1_S1_PKS1_PKT0_21rocsparse_index_base_PKT1_PS1_PS4_S7_,"axG",@progbits,_ZN9rocsparseL12ell2csr_fillILj256EdiiEEvT2_S1_S1_PKS1_PKT0_21rocsparse_index_base_PKT1_PS1_PS4_S7_,comdat
	.globl	_ZN9rocsparseL12ell2csr_fillILj256EdiiEEvT2_S1_S1_PKS1_PKT0_21rocsparse_index_base_PKT1_PS1_PS4_S7_ ; -- Begin function _ZN9rocsparseL12ell2csr_fillILj256EdiiEEvT2_S1_S1_PKS1_PKT0_21rocsparse_index_base_PKT1_PS1_PS4_S7_
	.p2align	8
	.type	_ZN9rocsparseL12ell2csr_fillILj256EdiiEEvT2_S1_S1_PKS1_PKT0_21rocsparse_index_base_PKT1_PS1_PS4_S7_,@function
_ZN9rocsparseL12ell2csr_fillILj256EdiiEEvT2_S1_S1_PKS1_PKT0_21rocsparse_index_base_PKT1_PS1_PS4_S7_: ; @_ZN9rocsparseL12ell2csr_fillILj256EdiiEEvT2_S1_S1_PKS1_PKT0_21rocsparse_index_base_PKT1_PS1_PS4_S7_
; %bb.0:
	s_load_dwordx4 s[8:11], s[4:5], 0x0
	v_lshl_or_b32 v0, s6, 8, v0
	s_waitcnt lgkmcnt(0)
	s_cmp_gt_i32 s10, 0
	v_cmp_gt_i32_e32 vcc, s8, v0
	s_cselect_b64 s[0:1], -1, 0
	s_and_b64 s[0:1], vcc, s[0:1]
	s_and_saveexec_b64 s[2:3], s[0:1]
	s_cbranch_execz .LBB2_5
; %bb.1:
	s_load_dwordx4 s[0:3], s[4:5], 0x28
	s_load_dwordx2 s[6:7], s[4:5], 0x38
	v_ashrrev_i32_e32 v1, 31, v0
	v_lshlrev_b64 v[2:3], 2, v[0:1]
	s_add_i32 s18, s10, -1
	s_waitcnt lgkmcnt(0)
	v_mov_b32_e32 v1, s1
	v_add_co_u32_e32 v2, vcc, s0, v2
	v_addc_co_u32_e32 v3, vcc, v1, v3, vcc
	global_load_dword v1, v[2:3], off
	s_load_dword s16, s[4:5], 0x40
	s_load_dwordx4 s[12:15], s[4:5], 0x10
	s_load_dword s17, s[4:5], 0x20
	s_mov_b64 s[4:5], 0
	s_waitcnt lgkmcnt(0)
	v_mov_b32_e32 v4, s13
	s_waitcnt vmcnt(0)
	v_subrev_u32_e32 v2, s16, v1
	s_branch .LBB2_3
.LBB2_2:                                ;   in Loop: Header=BB2_3 Depth=1
	s_or_b64 exec, exec, s[10:11]
	s_cmp_eq_u32 s18, 0
	s_cselect_b64 s[10:11], -1, 0
	s_or_b64 s[0:1], s[0:1], s[10:11]
	s_add_i32 s18, s18, -1
	s_and_b64 s[0:1], exec, s[0:1]
	s_or_b64 s[4:5], s[0:1], s[4:5]
	v_add_u32_e32 v0, s8, v0
	s_andn2_b64 exec, exec, s[4:5]
	s_cbranch_execz .LBB2_5
.LBB2_3:                                ; =>This Inner Loop Header: Depth=1
	v_ashrrev_i32_e32 v1, 31, v0
	v_lshlrev_b64 v[6:7], 2, v[0:1]
	v_add_co_u32_e32 v6, vcc, s12, v6
	v_addc_co_u32_e32 v7, vcc, v4, v7, vcc
	global_load_dword v3, v[6:7], off
	s_waitcnt vmcnt(0)
	v_subrev_u32_e32 v5, s17, v3
	v_cmp_gt_i32_e32 vcc, 0, v5
	v_cmp_le_i32_e64 s[0:1], s9, v5
	s_or_b64 s[0:1], vcc, s[0:1]
	s_xor_b64 s[20:21], s[0:1], -1
	s_and_saveexec_b64 s[10:11], s[20:21]
	s_cbranch_execz .LBB2_2
; %bb.4:                                ;   in Loop: Header=BB2_3 Depth=1
	v_lshlrev_b64 v[6:7], 3, v[0:1]
	v_mov_b32_e32 v1, s15
	v_add_co_u32_e32 v6, vcc, s14, v6
	v_addc_co_u32_e32 v7, vcc, v1, v7, vcc
	global_load_dwordx2 v[6:7], v[6:7], off
	v_ashrrev_i32_e32 v3, 31, v2
	v_lshlrev_b64 v[8:9], 3, v[2:3]
	v_mov_b32_e32 v10, s7
	v_add_co_u32_e32 v8, vcc, s6, v8
	v_add_u32_e32 v1, 1, v2
	v_lshlrev_b64 v[2:3], 2, v[2:3]
	v_addc_co_u32_e32 v9, vcc, v10, v9, vcc
	v_mov_b32_e32 v11, s3
	v_add_co_u32_e32 v2, vcc, s2, v2
	v_add_u32_e32 v5, s16, v5
	v_addc_co_u32_e32 v3, vcc, v11, v3, vcc
	global_store_dword v[2:3], v5, off
	s_waitcnt vmcnt(1)
	global_store_dwordx2 v[8:9], v[6:7], off
	v_mov_b32_e32 v2, v1
	s_branch .LBB2_2
.LBB2_5:
	s_endpgm
	.section	.rodata,"a",@progbits
	.p2align	6, 0x0
	.amdhsa_kernel _ZN9rocsparseL12ell2csr_fillILj256EdiiEEvT2_S1_S1_PKS1_PKT0_21rocsparse_index_base_PKT1_PS1_PS4_S7_
		.amdhsa_group_segment_fixed_size 0
		.amdhsa_private_segment_fixed_size 0
		.amdhsa_kernarg_size 68
		.amdhsa_user_sgpr_count 6
		.amdhsa_user_sgpr_private_segment_buffer 1
		.amdhsa_user_sgpr_dispatch_ptr 0
		.amdhsa_user_sgpr_queue_ptr 0
		.amdhsa_user_sgpr_kernarg_segment_ptr 1
		.amdhsa_user_sgpr_dispatch_id 0
		.amdhsa_user_sgpr_flat_scratch_init 0
		.amdhsa_user_sgpr_kernarg_preload_length 0
		.amdhsa_user_sgpr_kernarg_preload_offset 0
		.amdhsa_user_sgpr_private_segment_size 0
		.amdhsa_uses_dynamic_stack 0
		.amdhsa_system_sgpr_private_segment_wavefront_offset 0
		.amdhsa_system_sgpr_workgroup_id_x 1
		.amdhsa_system_sgpr_workgroup_id_y 0
		.amdhsa_system_sgpr_workgroup_id_z 0
		.amdhsa_system_sgpr_workgroup_info 0
		.amdhsa_system_vgpr_workitem_id 0
		.amdhsa_next_free_vgpr 12
		.amdhsa_next_free_sgpr 22
		.amdhsa_accum_offset 12
		.amdhsa_reserve_vcc 1
		.amdhsa_reserve_flat_scratch 0
		.amdhsa_float_round_mode_32 0
		.amdhsa_float_round_mode_16_64 0
		.amdhsa_float_denorm_mode_32 3
		.amdhsa_float_denorm_mode_16_64 3
		.amdhsa_dx10_clamp 1
		.amdhsa_ieee_mode 1
		.amdhsa_fp16_overflow 0
		.amdhsa_tg_split 0
		.amdhsa_exception_fp_ieee_invalid_op 0
		.amdhsa_exception_fp_denorm_src 0
		.amdhsa_exception_fp_ieee_div_zero 0
		.amdhsa_exception_fp_ieee_overflow 0
		.amdhsa_exception_fp_ieee_underflow 0
		.amdhsa_exception_fp_ieee_inexact 0
		.amdhsa_exception_int_div_zero 0
	.end_amdhsa_kernel
	.section	.text._ZN9rocsparseL12ell2csr_fillILj256EdiiEEvT2_S1_S1_PKS1_PKT0_21rocsparse_index_base_PKT1_PS1_PS4_S7_,"axG",@progbits,_ZN9rocsparseL12ell2csr_fillILj256EdiiEEvT2_S1_S1_PKS1_PKT0_21rocsparse_index_base_PKT1_PS1_PS4_S7_,comdat
.Lfunc_end2:
	.size	_ZN9rocsparseL12ell2csr_fillILj256EdiiEEvT2_S1_S1_PKS1_PKT0_21rocsparse_index_base_PKT1_PS1_PS4_S7_, .Lfunc_end2-_ZN9rocsparseL12ell2csr_fillILj256EdiiEEvT2_S1_S1_PKS1_PKT0_21rocsparse_index_base_PKT1_PS1_PS4_S7_
                                        ; -- End function
	.section	.AMDGPU.csdata,"",@progbits
; Kernel info:
; codeLenInByte = 364
; NumSgprs: 26
; NumVgprs: 12
; NumAgprs: 0
; TotalNumVgprs: 12
; ScratchSize: 0
; MemoryBound: 0
; FloatMode: 240
; IeeeMode: 1
; LDSByteSize: 0 bytes/workgroup (compile time only)
; SGPRBlocks: 3
; VGPRBlocks: 1
; NumSGPRsForWavesPerEU: 26
; NumVGPRsForWavesPerEU: 12
; AccumOffset: 12
; Occupancy: 8
; WaveLimiterHint : 0
; COMPUTE_PGM_RSRC2:SCRATCH_EN: 0
; COMPUTE_PGM_RSRC2:USER_SGPR: 6
; COMPUTE_PGM_RSRC2:TRAP_HANDLER: 0
; COMPUTE_PGM_RSRC2:TGID_X_EN: 1
; COMPUTE_PGM_RSRC2:TGID_Y_EN: 0
; COMPUTE_PGM_RSRC2:TGID_Z_EN: 0
; COMPUTE_PGM_RSRC2:TIDIG_COMP_CNT: 0
; COMPUTE_PGM_RSRC3_GFX90A:ACCUM_OFFSET: 2
; COMPUTE_PGM_RSRC3_GFX90A:TG_SPLIT: 0
	.section	.text._ZN9rocsparseL12ell2csr_fillILj256E21rocsparse_complex_numIdEiiEEvT2_S3_S3_PKS3_PKT0_21rocsparse_index_base_PKT1_PS3_PS6_S9_,"axG",@progbits,_ZN9rocsparseL12ell2csr_fillILj256E21rocsparse_complex_numIdEiiEEvT2_S3_S3_PKS3_PKT0_21rocsparse_index_base_PKT1_PS3_PS6_S9_,comdat
	.globl	_ZN9rocsparseL12ell2csr_fillILj256E21rocsparse_complex_numIdEiiEEvT2_S3_S3_PKS3_PKT0_21rocsparse_index_base_PKT1_PS3_PS6_S9_ ; -- Begin function _ZN9rocsparseL12ell2csr_fillILj256E21rocsparse_complex_numIdEiiEEvT2_S3_S3_PKS3_PKT0_21rocsparse_index_base_PKT1_PS3_PS6_S9_
	.p2align	8
	.type	_ZN9rocsparseL12ell2csr_fillILj256E21rocsparse_complex_numIdEiiEEvT2_S3_S3_PKS3_PKT0_21rocsparse_index_base_PKT1_PS3_PS6_S9_,@function
_ZN9rocsparseL12ell2csr_fillILj256E21rocsparse_complex_numIdEiiEEvT2_S3_S3_PKS3_PKT0_21rocsparse_index_base_PKT1_PS3_PS6_S9_: ; @_ZN9rocsparseL12ell2csr_fillILj256E21rocsparse_complex_numIdEiiEEvT2_S3_S3_PKS3_PKT0_21rocsparse_index_base_PKT1_PS3_PS6_S9_
; %bb.0:
	s_load_dwordx4 s[8:11], s[4:5], 0x0
	v_lshl_or_b32 v0, s6, 8, v0
	s_waitcnt lgkmcnt(0)
	s_cmp_gt_i32 s10, 0
	v_cmp_gt_i32_e32 vcc, s8, v0
	s_cselect_b64 s[0:1], -1, 0
	s_and_b64 s[0:1], vcc, s[0:1]
	s_and_saveexec_b64 s[2:3], s[0:1]
	s_cbranch_execz .LBB3_5
; %bb.1:
	s_load_dwordx4 s[0:3], s[4:5], 0x28
	s_load_dwordx2 s[6:7], s[4:5], 0x38
	v_ashrrev_i32_e32 v1, 31, v0
	v_lshlrev_b64 v[2:3], 2, v[0:1]
	s_add_i32 s18, s10, -1
	s_waitcnt lgkmcnt(0)
	v_mov_b32_e32 v1, s1
	v_add_co_u32_e32 v2, vcc, s0, v2
	v_addc_co_u32_e32 v3, vcc, v1, v3, vcc
	global_load_dword v1, v[2:3], off
	s_load_dword s16, s[4:5], 0x40
	s_load_dwordx4 s[12:15], s[4:5], 0x10
	s_load_dword s17, s[4:5], 0x20
	s_mov_b64 s[4:5], 0
	s_waitcnt lgkmcnt(0)
	v_mov_b32_e32 v4, s13
	s_waitcnt vmcnt(0)
	v_subrev_u32_e32 v2, s16, v1
	s_branch .LBB3_3
.LBB3_2:                                ;   in Loop: Header=BB3_3 Depth=1
	s_or_b64 exec, exec, s[10:11]
	s_cmp_eq_u32 s18, 0
	s_cselect_b64 s[10:11], -1, 0
	s_or_b64 s[0:1], s[0:1], s[10:11]
	s_add_i32 s18, s18, -1
	s_and_b64 s[0:1], exec, s[0:1]
	s_or_b64 s[4:5], s[0:1], s[4:5]
	v_add_u32_e32 v0, s8, v0
	s_andn2_b64 exec, exec, s[4:5]
	s_cbranch_execz .LBB3_5
.LBB3_3:                                ; =>This Inner Loop Header: Depth=1
	v_ashrrev_i32_e32 v1, 31, v0
	v_lshlrev_b64 v[6:7], 2, v[0:1]
	v_add_co_u32_e32 v6, vcc, s12, v6
	v_addc_co_u32_e32 v7, vcc, v4, v7, vcc
	global_load_dword v3, v[6:7], off
	s_waitcnt vmcnt(0)
	v_subrev_u32_e32 v5, s17, v3
	v_cmp_gt_i32_e32 vcc, 0, v5
	v_cmp_le_i32_e64 s[0:1], s9, v5
	s_or_b64 s[0:1], vcc, s[0:1]
	s_xor_b64 s[20:21], s[0:1], -1
	s_and_saveexec_b64 s[10:11], s[20:21]
	s_cbranch_execz .LBB3_2
; %bb.4:                                ;   in Loop: Header=BB3_3 Depth=1
	v_lshlrev_b64 v[6:7], 4, v[0:1]
	v_mov_b32_e32 v1, s15
	v_add_co_u32_e32 v6, vcc, s14, v6
	v_addc_co_u32_e32 v7, vcc, v1, v7, vcc
	global_load_dwordx4 v[6:9], v[6:7], off
	v_ashrrev_i32_e32 v3, 31, v2
	v_lshlrev_b64 v[10:11], 4, v[2:3]
	v_mov_b32_e32 v12, s7
	v_add_co_u32_e32 v10, vcc, s6, v10
	v_add_u32_e32 v1, 1, v2
	v_lshlrev_b64 v[2:3], 2, v[2:3]
	v_addc_co_u32_e32 v11, vcc, v12, v11, vcc
	v_mov_b32_e32 v13, s3
	v_add_co_u32_e32 v2, vcc, s2, v2
	v_add_u32_e32 v5, s16, v5
	v_addc_co_u32_e32 v3, vcc, v13, v3, vcc
	global_store_dword v[2:3], v5, off
	s_waitcnt vmcnt(1)
	global_store_dwordx4 v[10:11], v[6:9], off
	v_mov_b32_e32 v2, v1
	s_branch .LBB3_2
.LBB3_5:
	s_endpgm
	.section	.rodata,"a",@progbits
	.p2align	6, 0x0
	.amdhsa_kernel _ZN9rocsparseL12ell2csr_fillILj256E21rocsparse_complex_numIdEiiEEvT2_S3_S3_PKS3_PKT0_21rocsparse_index_base_PKT1_PS3_PS6_S9_
		.amdhsa_group_segment_fixed_size 0
		.amdhsa_private_segment_fixed_size 0
		.amdhsa_kernarg_size 68
		.amdhsa_user_sgpr_count 6
		.amdhsa_user_sgpr_private_segment_buffer 1
		.amdhsa_user_sgpr_dispatch_ptr 0
		.amdhsa_user_sgpr_queue_ptr 0
		.amdhsa_user_sgpr_kernarg_segment_ptr 1
		.amdhsa_user_sgpr_dispatch_id 0
		.amdhsa_user_sgpr_flat_scratch_init 0
		.amdhsa_user_sgpr_kernarg_preload_length 0
		.amdhsa_user_sgpr_kernarg_preload_offset 0
		.amdhsa_user_sgpr_private_segment_size 0
		.amdhsa_uses_dynamic_stack 0
		.amdhsa_system_sgpr_private_segment_wavefront_offset 0
		.amdhsa_system_sgpr_workgroup_id_x 1
		.amdhsa_system_sgpr_workgroup_id_y 0
		.amdhsa_system_sgpr_workgroup_id_z 0
		.amdhsa_system_sgpr_workgroup_info 0
		.amdhsa_system_vgpr_workitem_id 0
		.amdhsa_next_free_vgpr 14
		.amdhsa_next_free_sgpr 22
		.amdhsa_accum_offset 16
		.amdhsa_reserve_vcc 1
		.amdhsa_reserve_flat_scratch 0
		.amdhsa_float_round_mode_32 0
		.amdhsa_float_round_mode_16_64 0
		.amdhsa_float_denorm_mode_32 3
		.amdhsa_float_denorm_mode_16_64 3
		.amdhsa_dx10_clamp 1
		.amdhsa_ieee_mode 1
		.amdhsa_fp16_overflow 0
		.amdhsa_tg_split 0
		.amdhsa_exception_fp_ieee_invalid_op 0
		.amdhsa_exception_fp_denorm_src 0
		.amdhsa_exception_fp_ieee_div_zero 0
		.amdhsa_exception_fp_ieee_overflow 0
		.amdhsa_exception_fp_ieee_underflow 0
		.amdhsa_exception_fp_ieee_inexact 0
		.amdhsa_exception_int_div_zero 0
	.end_amdhsa_kernel
	.section	.text._ZN9rocsparseL12ell2csr_fillILj256E21rocsparse_complex_numIdEiiEEvT2_S3_S3_PKS3_PKT0_21rocsparse_index_base_PKT1_PS3_PS6_S9_,"axG",@progbits,_ZN9rocsparseL12ell2csr_fillILj256E21rocsparse_complex_numIdEiiEEvT2_S3_S3_PKS3_PKT0_21rocsparse_index_base_PKT1_PS3_PS6_S9_,comdat
.Lfunc_end3:
	.size	_ZN9rocsparseL12ell2csr_fillILj256E21rocsparse_complex_numIdEiiEEvT2_S3_S3_PKS3_PKT0_21rocsparse_index_base_PKT1_PS3_PS6_S9_, .Lfunc_end3-_ZN9rocsparseL12ell2csr_fillILj256E21rocsparse_complex_numIdEiiEEvT2_S3_S3_PKS3_PKT0_21rocsparse_index_base_PKT1_PS3_PS6_S9_
                                        ; -- End function
	.section	.AMDGPU.csdata,"",@progbits
; Kernel info:
; codeLenInByte = 364
; NumSgprs: 26
; NumVgprs: 14
; NumAgprs: 0
; TotalNumVgprs: 14
; ScratchSize: 0
; MemoryBound: 0
; FloatMode: 240
; IeeeMode: 1
; LDSByteSize: 0 bytes/workgroup (compile time only)
; SGPRBlocks: 3
; VGPRBlocks: 1
; NumSGPRsForWavesPerEU: 26
; NumVGPRsForWavesPerEU: 14
; AccumOffset: 16
; Occupancy: 8
; WaveLimiterHint : 0
; COMPUTE_PGM_RSRC2:SCRATCH_EN: 0
; COMPUTE_PGM_RSRC2:USER_SGPR: 6
; COMPUTE_PGM_RSRC2:TRAP_HANDLER: 0
; COMPUTE_PGM_RSRC2:TGID_X_EN: 1
; COMPUTE_PGM_RSRC2:TGID_Y_EN: 0
; COMPUTE_PGM_RSRC2:TGID_Z_EN: 0
; COMPUTE_PGM_RSRC2:TIDIG_COMP_CNT: 0
; COMPUTE_PGM_RSRC3_GFX90A:ACCUM_OFFSET: 3
; COMPUTE_PGM_RSRC3_GFX90A:TG_SPLIT: 0
	.section	.text._ZN9rocsparseL12ell2csr_fillILj256EfliEEvT2_S1_S1_PKS1_PKT0_21rocsparse_index_base_PKT1_PS1_PS4_S7_,"axG",@progbits,_ZN9rocsparseL12ell2csr_fillILj256EfliEEvT2_S1_S1_PKS1_PKT0_21rocsparse_index_base_PKT1_PS1_PS4_S7_,comdat
	.globl	_ZN9rocsparseL12ell2csr_fillILj256EfliEEvT2_S1_S1_PKS1_PKT0_21rocsparse_index_base_PKT1_PS1_PS4_S7_ ; -- Begin function _ZN9rocsparseL12ell2csr_fillILj256EfliEEvT2_S1_S1_PKS1_PKT0_21rocsparse_index_base_PKT1_PS1_PS4_S7_
	.p2align	8
	.type	_ZN9rocsparseL12ell2csr_fillILj256EfliEEvT2_S1_S1_PKS1_PKT0_21rocsparse_index_base_PKT1_PS1_PS4_S7_,@function
_ZN9rocsparseL12ell2csr_fillILj256EfliEEvT2_S1_S1_PKS1_PKT0_21rocsparse_index_base_PKT1_PS1_PS4_S7_: ; @_ZN9rocsparseL12ell2csr_fillILj256EfliEEvT2_S1_S1_PKS1_PKT0_21rocsparse_index_base_PKT1_PS1_PS4_S7_
; %bb.0:
	s_load_dwordx4 s[8:11], s[4:5], 0x0
	v_lshl_or_b32 v0, s6, 8, v0
	s_waitcnt lgkmcnt(0)
	s_cmp_gt_i32 s10, 0
	v_cmp_gt_i32_e32 vcc, s8, v0
	s_cselect_b64 s[0:1], -1, 0
	s_and_b64 s[0:1], vcc, s[0:1]
	s_and_saveexec_b64 s[2:3], s[0:1]
	s_cbranch_execz .LBB4_5
; %bb.1:
	s_load_dwordx4 s[0:3], s[4:5], 0x28
	s_load_dwordx2 s[6:7], s[4:5], 0x38
	v_ashrrev_i32_e32 v1, 31, v0
	v_lshlrev_b64 v[2:3], 3, v[0:1]
	s_add_i32 s18, s10, -1
	s_waitcnt lgkmcnt(0)
	v_mov_b32_e32 v1, s1
	v_add_co_u32_e32 v2, vcc, s0, v2
	v_addc_co_u32_e32 v3, vcc, v1, v3, vcc
	global_load_dwordx2 v[2:3], v[2:3], off
	s_load_dword s16, s[4:5], 0x40
	s_load_dwordx4 s[12:15], s[4:5], 0x10
	s_load_dword s17, s[4:5], 0x20
	s_mov_b64 s[4:5], 0
	s_waitcnt lgkmcnt(0)
	v_mov_b32_e32 v6, s13
	s_waitcnt vmcnt(0)
	v_subrev_co_u32_e32 v2, vcc, s16, v2
	v_subbrev_co_u32_e32 v3, vcc, 0, v3, vcc
	s_branch .LBB4_3
.LBB4_2:                                ;   in Loop: Header=BB4_3 Depth=1
	s_or_b64 exec, exec, s[10:11]
	s_cmp_eq_u32 s18, 0
	s_cselect_b64 s[10:11], -1, 0
	s_or_b64 s[0:1], s[0:1], s[10:11]
	s_add_i32 s18, s18, -1
	s_and_b64 s[0:1], exec, s[0:1]
	s_or_b64 s[4:5], s[0:1], s[4:5]
	v_add_u32_e32 v0, s8, v0
	s_andn2_b64 exec, exec, s[4:5]
	s_cbranch_execz .LBB4_5
.LBB4_3:                                ; =>This Inner Loop Header: Depth=1
	v_ashrrev_i32_e32 v1, 31, v0
	v_lshlrev_b64 v[4:5], 2, v[0:1]
	v_add_co_u32_e32 v8, vcc, s12, v4
	v_addc_co_u32_e32 v9, vcc, v6, v5, vcc
	global_load_dword v1, v[8:9], off
	s_waitcnt vmcnt(0)
	v_subrev_u32_e32 v1, s17, v1
	v_cmp_gt_i32_e32 vcc, 0, v1
	v_cmp_le_i32_e64 s[0:1], s9, v1
	s_or_b64 s[0:1], vcc, s[0:1]
	s_xor_b64 s[20:21], s[0:1], -1
	s_and_saveexec_b64 s[10:11], s[20:21]
	s_cbranch_execz .LBB4_2
; %bb.4:                                ;   in Loop: Header=BB4_3 Depth=1
	v_mov_b32_e32 v7, s15
	v_add_co_u32_e32 v4, vcc, s14, v4
	v_addc_co_u32_e32 v5, vcc, v7, v5, vcc
	global_load_dword v7, v[4:5], off
	v_add_co_u32_e32 v4, vcc, 1, v2
	v_addc_co_u32_e32 v5, vcc, 0, v3, vcc
	v_lshlrev_b64 v[2:3], 2, v[2:3]
	v_mov_b32_e32 v9, s7
	v_add_co_u32_e32 v8, vcc, s6, v2
	v_addc_co_u32_e32 v9, vcc, v9, v3, vcc
	v_mov_b32_e32 v10, s3
	v_add_co_u32_e32 v2, vcc, s2, v2
	v_add_u32_e32 v1, s16, v1
	v_addc_co_u32_e32 v3, vcc, v10, v3, vcc
	global_store_dword v[2:3], v1, off
	s_waitcnt vmcnt(1)
	global_store_dword v[8:9], v7, off
	v_pk_mov_b32 v[2:3], v[4:5], v[4:5] op_sel:[0,1]
	s_branch .LBB4_2
.LBB4_5:
	s_endpgm
	.section	.rodata,"a",@progbits
	.p2align	6, 0x0
	.amdhsa_kernel _ZN9rocsparseL12ell2csr_fillILj256EfliEEvT2_S1_S1_PKS1_PKT0_21rocsparse_index_base_PKT1_PS1_PS4_S7_
		.amdhsa_group_segment_fixed_size 0
		.amdhsa_private_segment_fixed_size 0
		.amdhsa_kernarg_size 68
		.amdhsa_user_sgpr_count 6
		.amdhsa_user_sgpr_private_segment_buffer 1
		.amdhsa_user_sgpr_dispatch_ptr 0
		.amdhsa_user_sgpr_queue_ptr 0
		.amdhsa_user_sgpr_kernarg_segment_ptr 1
		.amdhsa_user_sgpr_dispatch_id 0
		.amdhsa_user_sgpr_flat_scratch_init 0
		.amdhsa_user_sgpr_kernarg_preload_length 0
		.amdhsa_user_sgpr_kernarg_preload_offset 0
		.amdhsa_user_sgpr_private_segment_size 0
		.amdhsa_uses_dynamic_stack 0
		.amdhsa_system_sgpr_private_segment_wavefront_offset 0
		.amdhsa_system_sgpr_workgroup_id_x 1
		.amdhsa_system_sgpr_workgroup_id_y 0
		.amdhsa_system_sgpr_workgroup_id_z 0
		.amdhsa_system_sgpr_workgroup_info 0
		.amdhsa_system_vgpr_workitem_id 0
		.amdhsa_next_free_vgpr 11
		.amdhsa_next_free_sgpr 22
		.amdhsa_accum_offset 12
		.amdhsa_reserve_vcc 1
		.amdhsa_reserve_flat_scratch 0
		.amdhsa_float_round_mode_32 0
		.amdhsa_float_round_mode_16_64 0
		.amdhsa_float_denorm_mode_32 3
		.amdhsa_float_denorm_mode_16_64 3
		.amdhsa_dx10_clamp 1
		.amdhsa_ieee_mode 1
		.amdhsa_fp16_overflow 0
		.amdhsa_tg_split 0
		.amdhsa_exception_fp_ieee_invalid_op 0
		.amdhsa_exception_fp_denorm_src 0
		.amdhsa_exception_fp_ieee_div_zero 0
		.amdhsa_exception_fp_ieee_overflow 0
		.amdhsa_exception_fp_ieee_underflow 0
		.amdhsa_exception_fp_ieee_inexact 0
		.amdhsa_exception_int_div_zero 0
	.end_amdhsa_kernel
	.section	.text._ZN9rocsparseL12ell2csr_fillILj256EfliEEvT2_S1_S1_PKS1_PKT0_21rocsparse_index_base_PKT1_PS1_PS4_S7_,"axG",@progbits,_ZN9rocsparseL12ell2csr_fillILj256EfliEEvT2_S1_S1_PKS1_PKT0_21rocsparse_index_base_PKT1_PS1_PS4_S7_,comdat
.Lfunc_end4:
	.size	_ZN9rocsparseL12ell2csr_fillILj256EfliEEvT2_S1_S1_PKS1_PKT0_21rocsparse_index_base_PKT1_PS1_PS4_S7_, .Lfunc_end4-_ZN9rocsparseL12ell2csr_fillILj256EfliEEvT2_S1_S1_PKS1_PKT0_21rocsparse_index_base_PKT1_PS1_PS4_S7_
                                        ; -- End function
	.section	.AMDGPU.csdata,"",@progbits
; Kernel info:
; codeLenInByte = 356
; NumSgprs: 26
; NumVgprs: 11
; NumAgprs: 0
; TotalNumVgprs: 11
; ScratchSize: 0
; MemoryBound: 0
; FloatMode: 240
; IeeeMode: 1
; LDSByteSize: 0 bytes/workgroup (compile time only)
; SGPRBlocks: 3
; VGPRBlocks: 1
; NumSGPRsForWavesPerEU: 26
; NumVGPRsForWavesPerEU: 11
; AccumOffset: 12
; Occupancy: 8
; WaveLimiterHint : 0
; COMPUTE_PGM_RSRC2:SCRATCH_EN: 0
; COMPUTE_PGM_RSRC2:USER_SGPR: 6
; COMPUTE_PGM_RSRC2:TRAP_HANDLER: 0
; COMPUTE_PGM_RSRC2:TGID_X_EN: 1
; COMPUTE_PGM_RSRC2:TGID_Y_EN: 0
; COMPUTE_PGM_RSRC2:TGID_Z_EN: 0
; COMPUTE_PGM_RSRC2:TIDIG_COMP_CNT: 0
; COMPUTE_PGM_RSRC3_GFX90A:ACCUM_OFFSET: 2
; COMPUTE_PGM_RSRC3_GFX90A:TG_SPLIT: 0
	.section	.text._ZN9rocsparseL12ell2csr_fillILj256E21rocsparse_complex_numIfEliEEvT2_S3_S3_PKS3_PKT0_21rocsparse_index_base_PKT1_PS3_PS6_S9_,"axG",@progbits,_ZN9rocsparseL12ell2csr_fillILj256E21rocsparse_complex_numIfEliEEvT2_S3_S3_PKS3_PKT0_21rocsparse_index_base_PKT1_PS3_PS6_S9_,comdat
	.globl	_ZN9rocsparseL12ell2csr_fillILj256E21rocsparse_complex_numIfEliEEvT2_S3_S3_PKS3_PKT0_21rocsparse_index_base_PKT1_PS3_PS6_S9_ ; -- Begin function _ZN9rocsparseL12ell2csr_fillILj256E21rocsparse_complex_numIfEliEEvT2_S3_S3_PKS3_PKT0_21rocsparse_index_base_PKT1_PS3_PS6_S9_
	.p2align	8
	.type	_ZN9rocsparseL12ell2csr_fillILj256E21rocsparse_complex_numIfEliEEvT2_S3_S3_PKS3_PKT0_21rocsparse_index_base_PKT1_PS3_PS6_S9_,@function
_ZN9rocsparseL12ell2csr_fillILj256E21rocsparse_complex_numIfEliEEvT2_S3_S3_PKS3_PKT0_21rocsparse_index_base_PKT1_PS3_PS6_S9_: ; @_ZN9rocsparseL12ell2csr_fillILj256E21rocsparse_complex_numIfEliEEvT2_S3_S3_PKS3_PKT0_21rocsparse_index_base_PKT1_PS3_PS6_S9_
; %bb.0:
	s_load_dwordx4 s[8:11], s[4:5], 0x0
	v_lshl_or_b32 v0, s6, 8, v0
	s_waitcnt lgkmcnt(0)
	s_cmp_gt_i32 s10, 0
	v_cmp_gt_i32_e32 vcc, s8, v0
	s_cselect_b64 s[0:1], -1, 0
	s_and_b64 s[0:1], vcc, s[0:1]
	s_and_saveexec_b64 s[2:3], s[0:1]
	s_cbranch_execz .LBB5_5
; %bb.1:
	s_load_dwordx4 s[0:3], s[4:5], 0x28
	s_load_dwordx2 s[6:7], s[4:5], 0x38
	v_ashrrev_i32_e32 v1, 31, v0
	v_lshlrev_b64 v[2:3], 3, v[0:1]
	s_add_i32 s18, s10, -1
	s_waitcnt lgkmcnt(0)
	v_mov_b32_e32 v1, s1
	v_add_co_u32_e32 v2, vcc, s0, v2
	v_addc_co_u32_e32 v3, vcc, v1, v3, vcc
	global_load_dwordx2 v[2:3], v[2:3], off
	s_load_dword s16, s[4:5], 0x40
	s_load_dwordx4 s[12:15], s[4:5], 0x10
	s_load_dword s17, s[4:5], 0x20
	s_mov_b64 s[4:5], 0
	s_waitcnt lgkmcnt(0)
	v_mov_b32_e32 v4, s13
	s_waitcnt vmcnt(0)
	v_subrev_co_u32_e32 v2, vcc, s16, v2
	v_subbrev_co_u32_e32 v3, vcc, 0, v3, vcc
	s_branch .LBB5_3
.LBB5_2:                                ;   in Loop: Header=BB5_3 Depth=1
	s_or_b64 exec, exec, s[10:11]
	s_cmp_eq_u32 s18, 0
	s_cselect_b64 s[10:11], -1, 0
	s_or_b64 s[0:1], s[0:1], s[10:11]
	s_add_i32 s18, s18, -1
	s_and_b64 s[0:1], exec, s[0:1]
	s_or_b64 s[4:5], s[0:1], s[4:5]
	v_add_u32_e32 v0, s8, v0
	s_andn2_b64 exec, exec, s[4:5]
	s_cbranch_execz .LBB5_5
.LBB5_3:                                ; =>This Inner Loop Header: Depth=1
	v_ashrrev_i32_e32 v1, 31, v0
	v_lshlrev_b64 v[6:7], 2, v[0:1]
	v_add_co_u32_e32 v6, vcc, s12, v6
	v_addc_co_u32_e32 v7, vcc, v4, v7, vcc
	global_load_dword v5, v[6:7], off
	s_waitcnt vmcnt(0)
	v_subrev_u32_e32 v5, s17, v5
	v_cmp_gt_i32_e32 vcc, 0, v5
	v_cmp_le_i32_e64 s[0:1], s9, v5
	s_or_b64 s[0:1], vcc, s[0:1]
	s_xor_b64 s[20:21], s[0:1], -1
	s_and_saveexec_b64 s[10:11], s[20:21]
	s_cbranch_execz .LBB5_2
; %bb.4:                                ;   in Loop: Header=BB5_3 Depth=1
	v_lshlrev_b64 v[6:7], 3, v[0:1]
	v_mov_b32_e32 v1, s15
	v_add_co_u32_e32 v6, vcc, s14, v6
	v_addc_co_u32_e32 v7, vcc, v1, v7, vcc
	global_load_dwordx2 v[6:7], v[6:7], off
	v_add_co_u32_e32 v8, vcc, 1, v2
	v_addc_co_u32_e32 v9, vcc, 0, v3, vcc
	v_lshlrev_b64 v[10:11], 3, v[2:3]
	v_mov_b32_e32 v1, s7
	v_add_co_u32_e32 v10, vcc, s6, v10
	v_lshlrev_b64 v[2:3], 2, v[2:3]
	v_addc_co_u32_e32 v11, vcc, v1, v11, vcc
	v_mov_b32_e32 v12, s3
	v_add_co_u32_e32 v2, vcc, s2, v2
	v_add_u32_e32 v5, s16, v5
	v_addc_co_u32_e32 v3, vcc, v12, v3, vcc
	global_store_dword v[2:3], v5, off
	s_waitcnt vmcnt(1)
	global_store_dwordx2 v[10:11], v[6:7], off
	v_pk_mov_b32 v[2:3], v[8:9], v[8:9] op_sel:[0,1]
	s_branch .LBB5_2
.LBB5_5:
	s_endpgm
	.section	.rodata,"a",@progbits
	.p2align	6, 0x0
	.amdhsa_kernel _ZN9rocsparseL12ell2csr_fillILj256E21rocsparse_complex_numIfEliEEvT2_S3_S3_PKS3_PKT0_21rocsparse_index_base_PKT1_PS3_PS6_S9_
		.amdhsa_group_segment_fixed_size 0
		.amdhsa_private_segment_fixed_size 0
		.amdhsa_kernarg_size 68
		.amdhsa_user_sgpr_count 6
		.amdhsa_user_sgpr_private_segment_buffer 1
		.amdhsa_user_sgpr_dispatch_ptr 0
		.amdhsa_user_sgpr_queue_ptr 0
		.amdhsa_user_sgpr_kernarg_segment_ptr 1
		.amdhsa_user_sgpr_dispatch_id 0
		.amdhsa_user_sgpr_flat_scratch_init 0
		.amdhsa_user_sgpr_kernarg_preload_length 0
		.amdhsa_user_sgpr_kernarg_preload_offset 0
		.amdhsa_user_sgpr_private_segment_size 0
		.amdhsa_uses_dynamic_stack 0
		.amdhsa_system_sgpr_private_segment_wavefront_offset 0
		.amdhsa_system_sgpr_workgroup_id_x 1
		.amdhsa_system_sgpr_workgroup_id_y 0
		.amdhsa_system_sgpr_workgroup_id_z 0
		.amdhsa_system_sgpr_workgroup_info 0
		.amdhsa_system_vgpr_workitem_id 0
		.amdhsa_next_free_vgpr 13
		.amdhsa_next_free_sgpr 22
		.amdhsa_accum_offset 16
		.amdhsa_reserve_vcc 1
		.amdhsa_reserve_flat_scratch 0
		.amdhsa_float_round_mode_32 0
		.amdhsa_float_round_mode_16_64 0
		.amdhsa_float_denorm_mode_32 3
		.amdhsa_float_denorm_mode_16_64 3
		.amdhsa_dx10_clamp 1
		.amdhsa_ieee_mode 1
		.amdhsa_fp16_overflow 0
		.amdhsa_tg_split 0
		.amdhsa_exception_fp_ieee_invalid_op 0
		.amdhsa_exception_fp_denorm_src 0
		.amdhsa_exception_fp_ieee_div_zero 0
		.amdhsa_exception_fp_ieee_overflow 0
		.amdhsa_exception_fp_ieee_underflow 0
		.amdhsa_exception_fp_ieee_inexact 0
		.amdhsa_exception_int_div_zero 0
	.end_amdhsa_kernel
	.section	.text._ZN9rocsparseL12ell2csr_fillILj256E21rocsparse_complex_numIfEliEEvT2_S3_S3_PKS3_PKT0_21rocsparse_index_base_PKT1_PS3_PS6_S9_,"axG",@progbits,_ZN9rocsparseL12ell2csr_fillILj256E21rocsparse_complex_numIfEliEEvT2_S3_S3_PKS3_PKT0_21rocsparse_index_base_PKT1_PS3_PS6_S9_,comdat
.Lfunc_end5:
	.size	_ZN9rocsparseL12ell2csr_fillILj256E21rocsparse_complex_numIfEliEEvT2_S3_S3_PKS3_PKT0_21rocsparse_index_base_PKT1_PS3_PS6_S9_, .Lfunc_end5-_ZN9rocsparseL12ell2csr_fillILj256E21rocsparse_complex_numIfEliEEvT2_S3_S3_PKS3_PKT0_21rocsparse_index_base_PKT1_PS3_PS6_S9_
                                        ; -- End function
	.section	.AMDGPU.csdata,"",@progbits
; Kernel info:
; codeLenInByte = 372
; NumSgprs: 26
; NumVgprs: 13
; NumAgprs: 0
; TotalNumVgprs: 13
; ScratchSize: 0
; MemoryBound: 0
; FloatMode: 240
; IeeeMode: 1
; LDSByteSize: 0 bytes/workgroup (compile time only)
; SGPRBlocks: 3
; VGPRBlocks: 1
; NumSGPRsForWavesPerEU: 26
; NumVGPRsForWavesPerEU: 13
; AccumOffset: 16
; Occupancy: 8
; WaveLimiterHint : 0
; COMPUTE_PGM_RSRC2:SCRATCH_EN: 0
; COMPUTE_PGM_RSRC2:USER_SGPR: 6
; COMPUTE_PGM_RSRC2:TRAP_HANDLER: 0
; COMPUTE_PGM_RSRC2:TGID_X_EN: 1
; COMPUTE_PGM_RSRC2:TGID_Y_EN: 0
; COMPUTE_PGM_RSRC2:TGID_Z_EN: 0
; COMPUTE_PGM_RSRC2:TIDIG_COMP_CNT: 0
; COMPUTE_PGM_RSRC3_GFX90A:ACCUM_OFFSET: 3
; COMPUTE_PGM_RSRC3_GFX90A:TG_SPLIT: 0
	.section	.text._ZN9rocsparseL12ell2csr_fillILj256EdliEEvT2_S1_S1_PKS1_PKT0_21rocsparse_index_base_PKT1_PS1_PS4_S7_,"axG",@progbits,_ZN9rocsparseL12ell2csr_fillILj256EdliEEvT2_S1_S1_PKS1_PKT0_21rocsparse_index_base_PKT1_PS1_PS4_S7_,comdat
	.globl	_ZN9rocsparseL12ell2csr_fillILj256EdliEEvT2_S1_S1_PKS1_PKT0_21rocsparse_index_base_PKT1_PS1_PS4_S7_ ; -- Begin function _ZN9rocsparseL12ell2csr_fillILj256EdliEEvT2_S1_S1_PKS1_PKT0_21rocsparse_index_base_PKT1_PS1_PS4_S7_
	.p2align	8
	.type	_ZN9rocsparseL12ell2csr_fillILj256EdliEEvT2_S1_S1_PKS1_PKT0_21rocsparse_index_base_PKT1_PS1_PS4_S7_,@function
_ZN9rocsparseL12ell2csr_fillILj256EdliEEvT2_S1_S1_PKS1_PKT0_21rocsparse_index_base_PKT1_PS1_PS4_S7_: ; @_ZN9rocsparseL12ell2csr_fillILj256EdliEEvT2_S1_S1_PKS1_PKT0_21rocsparse_index_base_PKT1_PS1_PS4_S7_
; %bb.0:
	s_load_dwordx4 s[8:11], s[4:5], 0x0
	v_lshl_or_b32 v0, s6, 8, v0
	s_waitcnt lgkmcnt(0)
	s_cmp_gt_i32 s10, 0
	v_cmp_gt_i32_e32 vcc, s8, v0
	s_cselect_b64 s[0:1], -1, 0
	s_and_b64 s[0:1], vcc, s[0:1]
	s_and_saveexec_b64 s[2:3], s[0:1]
	s_cbranch_execz .LBB6_5
; %bb.1:
	s_load_dwordx4 s[0:3], s[4:5], 0x28
	s_load_dwordx2 s[6:7], s[4:5], 0x38
	v_ashrrev_i32_e32 v1, 31, v0
	v_lshlrev_b64 v[2:3], 3, v[0:1]
	s_add_i32 s18, s10, -1
	s_waitcnt lgkmcnt(0)
	v_mov_b32_e32 v1, s1
	v_add_co_u32_e32 v2, vcc, s0, v2
	v_addc_co_u32_e32 v3, vcc, v1, v3, vcc
	global_load_dwordx2 v[2:3], v[2:3], off
	s_load_dword s16, s[4:5], 0x40
	s_load_dwordx4 s[12:15], s[4:5], 0x10
	s_load_dword s17, s[4:5], 0x20
	s_mov_b64 s[4:5], 0
	s_waitcnt lgkmcnt(0)
	v_mov_b32_e32 v4, s13
	s_waitcnt vmcnt(0)
	v_subrev_co_u32_e32 v2, vcc, s16, v2
	v_subbrev_co_u32_e32 v3, vcc, 0, v3, vcc
	s_branch .LBB6_3
.LBB6_2:                                ;   in Loop: Header=BB6_3 Depth=1
	s_or_b64 exec, exec, s[10:11]
	s_cmp_eq_u32 s18, 0
	s_cselect_b64 s[10:11], -1, 0
	s_or_b64 s[0:1], s[0:1], s[10:11]
	s_add_i32 s18, s18, -1
	s_and_b64 s[0:1], exec, s[0:1]
	s_or_b64 s[4:5], s[0:1], s[4:5]
	v_add_u32_e32 v0, s8, v0
	s_andn2_b64 exec, exec, s[4:5]
	s_cbranch_execz .LBB6_5
.LBB6_3:                                ; =>This Inner Loop Header: Depth=1
	v_ashrrev_i32_e32 v1, 31, v0
	v_lshlrev_b64 v[6:7], 2, v[0:1]
	v_add_co_u32_e32 v6, vcc, s12, v6
	v_addc_co_u32_e32 v7, vcc, v4, v7, vcc
	global_load_dword v5, v[6:7], off
	s_waitcnt vmcnt(0)
	v_subrev_u32_e32 v5, s17, v5
	v_cmp_gt_i32_e32 vcc, 0, v5
	v_cmp_le_i32_e64 s[0:1], s9, v5
	s_or_b64 s[0:1], vcc, s[0:1]
	s_xor_b64 s[20:21], s[0:1], -1
	s_and_saveexec_b64 s[10:11], s[20:21]
	s_cbranch_execz .LBB6_2
; %bb.4:                                ;   in Loop: Header=BB6_3 Depth=1
	v_lshlrev_b64 v[6:7], 3, v[0:1]
	v_mov_b32_e32 v1, s15
	v_add_co_u32_e32 v6, vcc, s14, v6
	v_addc_co_u32_e32 v7, vcc, v1, v7, vcc
	global_load_dwordx2 v[6:7], v[6:7], off
	v_add_co_u32_e32 v8, vcc, 1, v2
	v_addc_co_u32_e32 v9, vcc, 0, v3, vcc
	v_lshlrev_b64 v[10:11], 3, v[2:3]
	v_mov_b32_e32 v1, s7
	v_add_co_u32_e32 v10, vcc, s6, v10
	v_lshlrev_b64 v[2:3], 2, v[2:3]
	v_addc_co_u32_e32 v11, vcc, v1, v11, vcc
	v_mov_b32_e32 v12, s3
	v_add_co_u32_e32 v2, vcc, s2, v2
	v_add_u32_e32 v5, s16, v5
	v_addc_co_u32_e32 v3, vcc, v12, v3, vcc
	global_store_dword v[2:3], v5, off
	s_waitcnt vmcnt(1)
	global_store_dwordx2 v[10:11], v[6:7], off
	v_pk_mov_b32 v[2:3], v[8:9], v[8:9] op_sel:[0,1]
	s_branch .LBB6_2
.LBB6_5:
	s_endpgm
	.section	.rodata,"a",@progbits
	.p2align	6, 0x0
	.amdhsa_kernel _ZN9rocsparseL12ell2csr_fillILj256EdliEEvT2_S1_S1_PKS1_PKT0_21rocsparse_index_base_PKT1_PS1_PS4_S7_
		.amdhsa_group_segment_fixed_size 0
		.amdhsa_private_segment_fixed_size 0
		.amdhsa_kernarg_size 68
		.amdhsa_user_sgpr_count 6
		.amdhsa_user_sgpr_private_segment_buffer 1
		.amdhsa_user_sgpr_dispatch_ptr 0
		.amdhsa_user_sgpr_queue_ptr 0
		.amdhsa_user_sgpr_kernarg_segment_ptr 1
		.amdhsa_user_sgpr_dispatch_id 0
		.amdhsa_user_sgpr_flat_scratch_init 0
		.amdhsa_user_sgpr_kernarg_preload_length 0
		.amdhsa_user_sgpr_kernarg_preload_offset 0
		.amdhsa_user_sgpr_private_segment_size 0
		.amdhsa_uses_dynamic_stack 0
		.amdhsa_system_sgpr_private_segment_wavefront_offset 0
		.amdhsa_system_sgpr_workgroup_id_x 1
		.amdhsa_system_sgpr_workgroup_id_y 0
		.amdhsa_system_sgpr_workgroup_id_z 0
		.amdhsa_system_sgpr_workgroup_info 0
		.amdhsa_system_vgpr_workitem_id 0
		.amdhsa_next_free_vgpr 13
		.amdhsa_next_free_sgpr 22
		.amdhsa_accum_offset 16
		.amdhsa_reserve_vcc 1
		.amdhsa_reserve_flat_scratch 0
		.amdhsa_float_round_mode_32 0
		.amdhsa_float_round_mode_16_64 0
		.amdhsa_float_denorm_mode_32 3
		.amdhsa_float_denorm_mode_16_64 3
		.amdhsa_dx10_clamp 1
		.amdhsa_ieee_mode 1
		.amdhsa_fp16_overflow 0
		.amdhsa_tg_split 0
		.amdhsa_exception_fp_ieee_invalid_op 0
		.amdhsa_exception_fp_denorm_src 0
		.amdhsa_exception_fp_ieee_div_zero 0
		.amdhsa_exception_fp_ieee_overflow 0
		.amdhsa_exception_fp_ieee_underflow 0
		.amdhsa_exception_fp_ieee_inexact 0
		.amdhsa_exception_int_div_zero 0
	.end_amdhsa_kernel
	.section	.text._ZN9rocsparseL12ell2csr_fillILj256EdliEEvT2_S1_S1_PKS1_PKT0_21rocsparse_index_base_PKT1_PS1_PS4_S7_,"axG",@progbits,_ZN9rocsparseL12ell2csr_fillILj256EdliEEvT2_S1_S1_PKS1_PKT0_21rocsparse_index_base_PKT1_PS1_PS4_S7_,comdat
.Lfunc_end6:
	.size	_ZN9rocsparseL12ell2csr_fillILj256EdliEEvT2_S1_S1_PKS1_PKT0_21rocsparse_index_base_PKT1_PS1_PS4_S7_, .Lfunc_end6-_ZN9rocsparseL12ell2csr_fillILj256EdliEEvT2_S1_S1_PKS1_PKT0_21rocsparse_index_base_PKT1_PS1_PS4_S7_
                                        ; -- End function
	.section	.AMDGPU.csdata,"",@progbits
; Kernel info:
; codeLenInByte = 372
; NumSgprs: 26
; NumVgprs: 13
; NumAgprs: 0
; TotalNumVgprs: 13
; ScratchSize: 0
; MemoryBound: 0
; FloatMode: 240
; IeeeMode: 1
; LDSByteSize: 0 bytes/workgroup (compile time only)
; SGPRBlocks: 3
; VGPRBlocks: 1
; NumSGPRsForWavesPerEU: 26
; NumVGPRsForWavesPerEU: 13
; AccumOffset: 16
; Occupancy: 8
; WaveLimiterHint : 0
; COMPUTE_PGM_RSRC2:SCRATCH_EN: 0
; COMPUTE_PGM_RSRC2:USER_SGPR: 6
; COMPUTE_PGM_RSRC2:TRAP_HANDLER: 0
; COMPUTE_PGM_RSRC2:TGID_X_EN: 1
; COMPUTE_PGM_RSRC2:TGID_Y_EN: 0
; COMPUTE_PGM_RSRC2:TGID_Z_EN: 0
; COMPUTE_PGM_RSRC2:TIDIG_COMP_CNT: 0
; COMPUTE_PGM_RSRC3_GFX90A:ACCUM_OFFSET: 3
; COMPUTE_PGM_RSRC3_GFX90A:TG_SPLIT: 0
	.section	.text._ZN9rocsparseL12ell2csr_fillILj256E21rocsparse_complex_numIdEliEEvT2_S3_S3_PKS3_PKT0_21rocsparse_index_base_PKT1_PS3_PS6_S9_,"axG",@progbits,_ZN9rocsparseL12ell2csr_fillILj256E21rocsparse_complex_numIdEliEEvT2_S3_S3_PKS3_PKT0_21rocsparse_index_base_PKT1_PS3_PS6_S9_,comdat
	.globl	_ZN9rocsparseL12ell2csr_fillILj256E21rocsparse_complex_numIdEliEEvT2_S3_S3_PKS3_PKT0_21rocsparse_index_base_PKT1_PS3_PS6_S9_ ; -- Begin function _ZN9rocsparseL12ell2csr_fillILj256E21rocsparse_complex_numIdEliEEvT2_S3_S3_PKS3_PKT0_21rocsparse_index_base_PKT1_PS3_PS6_S9_
	.p2align	8
	.type	_ZN9rocsparseL12ell2csr_fillILj256E21rocsparse_complex_numIdEliEEvT2_S3_S3_PKS3_PKT0_21rocsparse_index_base_PKT1_PS3_PS6_S9_,@function
_ZN9rocsparseL12ell2csr_fillILj256E21rocsparse_complex_numIdEliEEvT2_S3_S3_PKS3_PKT0_21rocsparse_index_base_PKT1_PS3_PS6_S9_: ; @_ZN9rocsparseL12ell2csr_fillILj256E21rocsparse_complex_numIdEliEEvT2_S3_S3_PKS3_PKT0_21rocsparse_index_base_PKT1_PS3_PS6_S9_
; %bb.0:
	s_load_dwordx4 s[8:11], s[4:5], 0x0
	v_lshl_or_b32 v0, s6, 8, v0
	s_waitcnt lgkmcnt(0)
	s_cmp_gt_i32 s10, 0
	v_cmp_gt_i32_e32 vcc, s8, v0
	s_cselect_b64 s[0:1], -1, 0
	s_and_b64 s[0:1], vcc, s[0:1]
	s_and_saveexec_b64 s[2:3], s[0:1]
	s_cbranch_execz .LBB7_5
; %bb.1:
	s_load_dwordx4 s[0:3], s[4:5], 0x28
	s_load_dwordx2 s[6:7], s[4:5], 0x38
	v_ashrrev_i32_e32 v1, 31, v0
	v_lshlrev_b64 v[2:3], 3, v[0:1]
	s_add_i32 s18, s10, -1
	s_waitcnt lgkmcnt(0)
	v_mov_b32_e32 v1, s1
	v_add_co_u32_e32 v2, vcc, s0, v2
	v_addc_co_u32_e32 v3, vcc, v1, v3, vcc
	global_load_dwordx2 v[2:3], v[2:3], off
	s_load_dword s16, s[4:5], 0x40
	s_load_dwordx4 s[12:15], s[4:5], 0x10
	s_load_dword s17, s[4:5], 0x20
	s_mov_b64 s[4:5], 0
	s_waitcnt lgkmcnt(0)
	v_mov_b32_e32 v4, s13
	s_waitcnt vmcnt(0)
	v_subrev_co_u32_e32 v2, vcc, s16, v2
	v_subbrev_co_u32_e32 v3, vcc, 0, v3, vcc
	s_branch .LBB7_3
.LBB7_2:                                ;   in Loop: Header=BB7_3 Depth=1
	s_or_b64 exec, exec, s[10:11]
	s_cmp_eq_u32 s18, 0
	s_cselect_b64 s[10:11], -1, 0
	s_or_b64 s[0:1], s[0:1], s[10:11]
	s_add_i32 s18, s18, -1
	s_and_b64 s[0:1], exec, s[0:1]
	s_or_b64 s[4:5], s[0:1], s[4:5]
	v_add_u32_e32 v0, s8, v0
	s_andn2_b64 exec, exec, s[4:5]
	s_cbranch_execz .LBB7_5
.LBB7_3:                                ; =>This Inner Loop Header: Depth=1
	v_ashrrev_i32_e32 v1, 31, v0
	v_lshlrev_b64 v[6:7], 2, v[0:1]
	v_add_co_u32_e32 v6, vcc, s12, v6
	v_addc_co_u32_e32 v7, vcc, v4, v7, vcc
	global_load_dword v5, v[6:7], off
	s_waitcnt vmcnt(0)
	v_subrev_u32_e32 v5, s17, v5
	v_cmp_gt_i32_e32 vcc, 0, v5
	v_cmp_le_i32_e64 s[0:1], s9, v5
	s_or_b64 s[0:1], vcc, s[0:1]
	s_xor_b64 s[20:21], s[0:1], -1
	s_and_saveexec_b64 s[10:11], s[20:21]
	s_cbranch_execz .LBB7_2
; %bb.4:                                ;   in Loop: Header=BB7_3 Depth=1
	v_lshlrev_b64 v[6:7], 4, v[0:1]
	v_mov_b32_e32 v1, s15
	v_add_co_u32_e32 v6, vcc, s14, v6
	v_addc_co_u32_e32 v7, vcc, v1, v7, vcc
	global_load_dwordx4 v[6:9], v[6:7], off
	v_add_co_u32_e32 v10, vcc, 1, v2
	v_addc_co_u32_e32 v11, vcc, 0, v3, vcc
	v_lshlrev_b64 v[12:13], 4, v[2:3]
	v_mov_b32_e32 v1, s7
	v_add_co_u32_e32 v12, vcc, s6, v12
	v_lshlrev_b64 v[2:3], 2, v[2:3]
	v_addc_co_u32_e32 v13, vcc, v1, v13, vcc
	v_mov_b32_e32 v14, s3
	v_add_co_u32_e32 v2, vcc, s2, v2
	v_add_u32_e32 v5, s16, v5
	v_addc_co_u32_e32 v3, vcc, v14, v3, vcc
	global_store_dword v[2:3], v5, off
	s_waitcnt vmcnt(1)
	global_store_dwordx4 v[12:13], v[6:9], off
	v_pk_mov_b32 v[2:3], v[10:11], v[10:11] op_sel:[0,1]
	s_branch .LBB7_2
.LBB7_5:
	s_endpgm
	.section	.rodata,"a",@progbits
	.p2align	6, 0x0
	.amdhsa_kernel _ZN9rocsparseL12ell2csr_fillILj256E21rocsparse_complex_numIdEliEEvT2_S3_S3_PKS3_PKT0_21rocsparse_index_base_PKT1_PS3_PS6_S9_
		.amdhsa_group_segment_fixed_size 0
		.amdhsa_private_segment_fixed_size 0
		.amdhsa_kernarg_size 68
		.amdhsa_user_sgpr_count 6
		.amdhsa_user_sgpr_private_segment_buffer 1
		.amdhsa_user_sgpr_dispatch_ptr 0
		.amdhsa_user_sgpr_queue_ptr 0
		.amdhsa_user_sgpr_kernarg_segment_ptr 1
		.amdhsa_user_sgpr_dispatch_id 0
		.amdhsa_user_sgpr_flat_scratch_init 0
		.amdhsa_user_sgpr_kernarg_preload_length 0
		.amdhsa_user_sgpr_kernarg_preload_offset 0
		.amdhsa_user_sgpr_private_segment_size 0
		.amdhsa_uses_dynamic_stack 0
		.amdhsa_system_sgpr_private_segment_wavefront_offset 0
		.amdhsa_system_sgpr_workgroup_id_x 1
		.amdhsa_system_sgpr_workgroup_id_y 0
		.amdhsa_system_sgpr_workgroup_id_z 0
		.amdhsa_system_sgpr_workgroup_info 0
		.amdhsa_system_vgpr_workitem_id 0
		.amdhsa_next_free_vgpr 15
		.amdhsa_next_free_sgpr 22
		.amdhsa_accum_offset 16
		.amdhsa_reserve_vcc 1
		.amdhsa_reserve_flat_scratch 0
		.amdhsa_float_round_mode_32 0
		.amdhsa_float_round_mode_16_64 0
		.amdhsa_float_denorm_mode_32 3
		.amdhsa_float_denorm_mode_16_64 3
		.amdhsa_dx10_clamp 1
		.amdhsa_ieee_mode 1
		.amdhsa_fp16_overflow 0
		.amdhsa_tg_split 0
		.amdhsa_exception_fp_ieee_invalid_op 0
		.amdhsa_exception_fp_denorm_src 0
		.amdhsa_exception_fp_ieee_div_zero 0
		.amdhsa_exception_fp_ieee_overflow 0
		.amdhsa_exception_fp_ieee_underflow 0
		.amdhsa_exception_fp_ieee_inexact 0
		.amdhsa_exception_int_div_zero 0
	.end_amdhsa_kernel
	.section	.text._ZN9rocsparseL12ell2csr_fillILj256E21rocsparse_complex_numIdEliEEvT2_S3_S3_PKS3_PKT0_21rocsparse_index_base_PKT1_PS3_PS6_S9_,"axG",@progbits,_ZN9rocsparseL12ell2csr_fillILj256E21rocsparse_complex_numIdEliEEvT2_S3_S3_PKS3_PKT0_21rocsparse_index_base_PKT1_PS3_PS6_S9_,comdat
.Lfunc_end7:
	.size	_ZN9rocsparseL12ell2csr_fillILj256E21rocsparse_complex_numIdEliEEvT2_S3_S3_PKS3_PKT0_21rocsparse_index_base_PKT1_PS3_PS6_S9_, .Lfunc_end7-_ZN9rocsparseL12ell2csr_fillILj256E21rocsparse_complex_numIdEliEEvT2_S3_S3_PKS3_PKT0_21rocsparse_index_base_PKT1_PS3_PS6_S9_
                                        ; -- End function
	.section	.AMDGPU.csdata,"",@progbits
; Kernel info:
; codeLenInByte = 372
; NumSgprs: 26
; NumVgprs: 15
; NumAgprs: 0
; TotalNumVgprs: 15
; ScratchSize: 0
; MemoryBound: 0
; FloatMode: 240
; IeeeMode: 1
; LDSByteSize: 0 bytes/workgroup (compile time only)
; SGPRBlocks: 3
; VGPRBlocks: 1
; NumSGPRsForWavesPerEU: 26
; NumVGPRsForWavesPerEU: 15
; AccumOffset: 16
; Occupancy: 8
; WaveLimiterHint : 0
; COMPUTE_PGM_RSRC2:SCRATCH_EN: 0
; COMPUTE_PGM_RSRC2:USER_SGPR: 6
; COMPUTE_PGM_RSRC2:TRAP_HANDLER: 0
; COMPUTE_PGM_RSRC2:TGID_X_EN: 1
; COMPUTE_PGM_RSRC2:TGID_Y_EN: 0
; COMPUTE_PGM_RSRC2:TGID_Z_EN: 0
; COMPUTE_PGM_RSRC2:TIDIG_COMP_CNT: 0
; COMPUTE_PGM_RSRC3_GFX90A:ACCUM_OFFSET: 3
; COMPUTE_PGM_RSRC3_GFX90A:TG_SPLIT: 0
	.section	.text._ZN9rocsparseL12ell2csr_fillILj256EfilEEvT2_S1_S1_PKS1_PKT0_21rocsparse_index_base_PKT1_PS1_PS4_S7_,"axG",@progbits,_ZN9rocsparseL12ell2csr_fillILj256EfilEEvT2_S1_S1_PKS1_PKT0_21rocsparse_index_base_PKT1_PS1_PS4_S7_,comdat
	.globl	_ZN9rocsparseL12ell2csr_fillILj256EfilEEvT2_S1_S1_PKS1_PKT0_21rocsparse_index_base_PKT1_PS1_PS4_S7_ ; -- Begin function _ZN9rocsparseL12ell2csr_fillILj256EfilEEvT2_S1_S1_PKS1_PKT0_21rocsparse_index_base_PKT1_PS1_PS4_S7_
	.p2align	8
	.type	_ZN9rocsparseL12ell2csr_fillILj256EfilEEvT2_S1_S1_PKS1_PKT0_21rocsparse_index_base_PKT1_PS1_PS4_S7_,@function
_ZN9rocsparseL12ell2csr_fillILj256EfilEEvT2_S1_S1_PKS1_PKT0_21rocsparse_index_base_PKT1_PS1_PS4_S7_: ; @_ZN9rocsparseL12ell2csr_fillILj256EfilEEvT2_S1_S1_PKS1_PKT0_21rocsparse_index_base_PKT1_PS1_PS4_S7_
; %bb.0:
	s_load_dwordx4 s[8:11], s[4:5], 0x0
	s_load_dwordx2 s[18:19], s[4:5], 0x10
	v_lshl_or_b32 v0, s6, 8, v0
	v_mov_b32_e32 v1, 0
	s_mov_b64 s[6:7], 0
	s_waitcnt lgkmcnt(0)
	v_cmp_gt_i64_e32 vcc, s[8:9], v[0:1]
	v_cmp_gt_i64_e64 s[0:1], s[18:19], 0
	s_and_b64 s[0:1], vcc, s[0:1]
	s_and_saveexec_b64 s[2:3], s[0:1]
	s_cbranch_execz .LBB8_5
; %bb.1:
	s_load_dwordx4 s[0:3], s[4:5], 0x30
	s_load_dwordx2 s[16:17], s[4:5], 0x40
	v_lshlrev_b64 v[2:3], 2, v[0:1]
	s_waitcnt lgkmcnt(0)
	v_mov_b32_e32 v1, s1
	v_add_co_u32_e32 v2, vcc, s0, v2
	v_addc_co_u32_e32 v3, vcc, v1, v3, vcc
	global_load_dword v1, v[2:3], off
	s_load_dwordx4 s[12:15], s[4:5], 0x18
	s_load_dword s9, s[4:5], 0x28
	s_load_dword s20, s[4:5], 0x48
	s_mov_b32 s0, 0
	s_add_u32 s4, s18, -1
	s_mov_b32 s21, s0
	s_addc_u32 s5, s19, -1
	s_waitcnt lgkmcnt(0)
	v_mov_b32_e32 v6, s13
	v_mov_b32_e32 v7, s0
	s_waitcnt vmcnt(0)
	v_subrev_u32_e32 v2, s20, v1
	s_branch .LBB8_3
.LBB8_2:                                ;   in Loop: Header=BB8_3 Depth=1
	s_or_b64 exec, exec, s[18:19]
	s_cmp_eq_u64 s[4:5], 0
	s_cselect_b64 s[18:19], -1, 0
	s_or_b64 s[0:1], s[0:1], s[18:19]
	s_add_u32 s4, s4, -1
	s_addc_u32 s5, s5, -1
	s_and_b64 s[0:1], exec, s[0:1]
	s_or_b64 s[6:7], s[0:1], s[6:7]
	v_add_u32_e32 v0, s8, v0
	s_andn2_b64 exec, exec, s[6:7]
	s_cbranch_execz .LBB8_5
.LBB8_3:                                ; =>This Inner Loop Header: Depth=1
	v_ashrrev_i32_e32 v1, 31, v0
	v_lshlrev_b64 v[4:5], 3, v[0:1]
	v_add_co_u32_e32 v4, vcc, s12, v4
	v_addc_co_u32_e32 v5, vcc, v6, v5, vcc
	global_load_dwordx2 v[4:5], v[4:5], off
	s_waitcnt vmcnt(0)
	v_subrev_co_u32_e32 v4, vcc, s9, v4
	v_subb_co_u32_e32 v5, vcc, v5, v7, vcc
	v_cmp_gt_i64_e32 vcc, 0, v[4:5]
	v_cmp_le_i64_e64 s[0:1], s[10:11], v[4:5]
	s_or_b64 s[0:1], vcc, s[0:1]
	s_xor_b64 s[22:23], s[0:1], -1
	s_and_saveexec_b64 s[18:19], s[22:23]
	s_cbranch_execz .LBB8_2
; %bb.4:                                ;   in Loop: Header=BB8_3 Depth=1
	v_lshlrev_b64 v[8:9], 2, v[0:1]
	v_mov_b32_e32 v1, s15
	v_add_co_u32_e32 v8, vcc, s14, v8
	v_addc_co_u32_e32 v9, vcc, v1, v9, vcc
	global_load_dword v1, v[8:9], off
	v_ashrrev_i32_e32 v3, 31, v2
	v_mov_b32_e32 v13, s21
	v_add_co_u32_e32 v4, vcc, s20, v4
	v_lshlrev_b64 v[8:9], 2, v[2:3]
	v_addc_co_u32_e32 v5, vcc, v5, v13, vcc
	v_mov_b32_e32 v11, s17
	v_add_co_u32_e32 v8, vcc, s16, v8
	v_add_u32_e32 v10, 1, v2
	v_lshlrev_b64 v[2:3], 3, v[2:3]
	v_addc_co_u32_e32 v9, vcc, v11, v9, vcc
	v_mov_b32_e32 v12, s3
	v_add_co_u32_e32 v2, vcc, s2, v2
	v_addc_co_u32_e32 v3, vcc, v12, v3, vcc
	global_store_dwordx2 v[2:3], v[4:5], off
	s_waitcnt vmcnt(1)
	global_store_dword v[8:9], v1, off
	v_mov_b32_e32 v2, v10
	s_branch .LBB8_2
.LBB8_5:
	s_endpgm
	.section	.rodata,"a",@progbits
	.p2align	6, 0x0
	.amdhsa_kernel _ZN9rocsparseL12ell2csr_fillILj256EfilEEvT2_S1_S1_PKS1_PKT0_21rocsparse_index_base_PKT1_PS1_PS4_S7_
		.amdhsa_group_segment_fixed_size 0
		.amdhsa_private_segment_fixed_size 0
		.amdhsa_kernarg_size 76
		.amdhsa_user_sgpr_count 6
		.amdhsa_user_sgpr_private_segment_buffer 1
		.amdhsa_user_sgpr_dispatch_ptr 0
		.amdhsa_user_sgpr_queue_ptr 0
		.amdhsa_user_sgpr_kernarg_segment_ptr 1
		.amdhsa_user_sgpr_dispatch_id 0
		.amdhsa_user_sgpr_flat_scratch_init 0
		.amdhsa_user_sgpr_kernarg_preload_length 0
		.amdhsa_user_sgpr_kernarg_preload_offset 0
		.amdhsa_user_sgpr_private_segment_size 0
		.amdhsa_uses_dynamic_stack 0
		.amdhsa_system_sgpr_private_segment_wavefront_offset 0
		.amdhsa_system_sgpr_workgroup_id_x 1
		.amdhsa_system_sgpr_workgroup_id_y 0
		.amdhsa_system_sgpr_workgroup_id_z 0
		.amdhsa_system_sgpr_workgroup_info 0
		.amdhsa_system_vgpr_workitem_id 0
		.amdhsa_next_free_vgpr 14
		.amdhsa_next_free_sgpr 24
		.amdhsa_accum_offset 16
		.amdhsa_reserve_vcc 1
		.amdhsa_reserve_flat_scratch 0
		.amdhsa_float_round_mode_32 0
		.amdhsa_float_round_mode_16_64 0
		.amdhsa_float_denorm_mode_32 3
		.amdhsa_float_denorm_mode_16_64 3
		.amdhsa_dx10_clamp 1
		.amdhsa_ieee_mode 1
		.amdhsa_fp16_overflow 0
		.amdhsa_tg_split 0
		.amdhsa_exception_fp_ieee_invalid_op 0
		.amdhsa_exception_fp_denorm_src 0
		.amdhsa_exception_fp_ieee_div_zero 0
		.amdhsa_exception_fp_ieee_overflow 0
		.amdhsa_exception_fp_ieee_underflow 0
		.amdhsa_exception_fp_ieee_inexact 0
		.amdhsa_exception_int_div_zero 0
	.end_amdhsa_kernel
	.section	.text._ZN9rocsparseL12ell2csr_fillILj256EfilEEvT2_S1_S1_PKS1_PKT0_21rocsparse_index_base_PKT1_PS1_PS4_S7_,"axG",@progbits,_ZN9rocsparseL12ell2csr_fillILj256EfilEEvT2_S1_S1_PKS1_PKT0_21rocsparse_index_base_PKT1_PS1_PS4_S7_,comdat
.Lfunc_end8:
	.size	_ZN9rocsparseL12ell2csr_fillILj256EfilEEvT2_S1_S1_PKS1_PKT0_21rocsparse_index_base_PKT1_PS1_PS4_S7_, .Lfunc_end8-_ZN9rocsparseL12ell2csr_fillILj256EfilEEvT2_S1_S1_PKS1_PKT0_21rocsparse_index_base_PKT1_PS1_PS4_S7_
                                        ; -- End function
	.section	.AMDGPU.csdata,"",@progbits
; Kernel info:
; codeLenInByte = 404
; NumSgprs: 28
; NumVgprs: 14
; NumAgprs: 0
; TotalNumVgprs: 14
; ScratchSize: 0
; MemoryBound: 0
; FloatMode: 240
; IeeeMode: 1
; LDSByteSize: 0 bytes/workgroup (compile time only)
; SGPRBlocks: 3
; VGPRBlocks: 1
; NumSGPRsForWavesPerEU: 28
; NumVGPRsForWavesPerEU: 14
; AccumOffset: 16
; Occupancy: 8
; WaveLimiterHint : 0
; COMPUTE_PGM_RSRC2:SCRATCH_EN: 0
; COMPUTE_PGM_RSRC2:USER_SGPR: 6
; COMPUTE_PGM_RSRC2:TRAP_HANDLER: 0
; COMPUTE_PGM_RSRC2:TGID_X_EN: 1
; COMPUTE_PGM_RSRC2:TGID_Y_EN: 0
; COMPUTE_PGM_RSRC2:TGID_Z_EN: 0
; COMPUTE_PGM_RSRC2:TIDIG_COMP_CNT: 0
; COMPUTE_PGM_RSRC3_GFX90A:ACCUM_OFFSET: 3
; COMPUTE_PGM_RSRC3_GFX90A:TG_SPLIT: 0
	.section	.text._ZN9rocsparseL12ell2csr_fillILj256E21rocsparse_complex_numIfEilEEvT2_S3_S3_PKS3_PKT0_21rocsparse_index_base_PKT1_PS3_PS6_S9_,"axG",@progbits,_ZN9rocsparseL12ell2csr_fillILj256E21rocsparse_complex_numIfEilEEvT2_S3_S3_PKS3_PKT0_21rocsparse_index_base_PKT1_PS3_PS6_S9_,comdat
	.globl	_ZN9rocsparseL12ell2csr_fillILj256E21rocsparse_complex_numIfEilEEvT2_S3_S3_PKS3_PKT0_21rocsparse_index_base_PKT1_PS3_PS6_S9_ ; -- Begin function _ZN9rocsparseL12ell2csr_fillILj256E21rocsparse_complex_numIfEilEEvT2_S3_S3_PKS3_PKT0_21rocsparse_index_base_PKT1_PS3_PS6_S9_
	.p2align	8
	.type	_ZN9rocsparseL12ell2csr_fillILj256E21rocsparse_complex_numIfEilEEvT2_S3_S3_PKS3_PKT0_21rocsparse_index_base_PKT1_PS3_PS6_S9_,@function
_ZN9rocsparseL12ell2csr_fillILj256E21rocsparse_complex_numIfEilEEvT2_S3_S3_PKS3_PKT0_21rocsparse_index_base_PKT1_PS3_PS6_S9_: ; @_ZN9rocsparseL12ell2csr_fillILj256E21rocsparse_complex_numIfEilEEvT2_S3_S3_PKS3_PKT0_21rocsparse_index_base_PKT1_PS3_PS6_S9_
; %bb.0:
	s_load_dwordx4 s[8:11], s[4:5], 0x0
	s_load_dwordx2 s[18:19], s[4:5], 0x10
	v_lshl_or_b32 v0, s6, 8, v0
	v_mov_b32_e32 v1, 0
	s_mov_b64 s[6:7], 0
	s_waitcnt lgkmcnt(0)
	v_cmp_gt_i64_e32 vcc, s[8:9], v[0:1]
	v_cmp_gt_i64_e64 s[0:1], s[18:19], 0
	s_and_b64 s[0:1], vcc, s[0:1]
	s_and_saveexec_b64 s[2:3], s[0:1]
	s_cbranch_execz .LBB9_5
; %bb.1:
	s_load_dwordx4 s[0:3], s[4:5], 0x30
	s_load_dwordx2 s[16:17], s[4:5], 0x40
	v_lshlrev_b64 v[2:3], 2, v[0:1]
	s_waitcnt lgkmcnt(0)
	v_mov_b32_e32 v1, s1
	v_add_co_u32_e32 v2, vcc, s0, v2
	v_addc_co_u32_e32 v3, vcc, v1, v3, vcc
	global_load_dword v1, v[2:3], off
	s_load_dwordx4 s[12:15], s[4:5], 0x18
	s_load_dword s9, s[4:5], 0x28
	s_load_dword s20, s[4:5], 0x48
	s_mov_b32 s0, 0
	s_add_u32 s4, s18, -1
	s_mov_b32 s21, s0
	s_addc_u32 s5, s19, -1
	s_waitcnt lgkmcnt(0)
	v_mov_b32_e32 v8, s13
	v_mov_b32_e32 v9, s0
	s_waitcnt vmcnt(0)
	v_subrev_u32_e32 v2, s20, v1
	s_branch .LBB9_3
.LBB9_2:                                ;   in Loop: Header=BB9_3 Depth=1
	s_or_b64 exec, exec, s[18:19]
	s_cmp_eq_u64 s[4:5], 0
	s_cselect_b64 s[18:19], -1, 0
	s_or_b64 s[0:1], s[0:1], s[18:19]
	s_add_u32 s4, s4, -1
	s_addc_u32 s5, s5, -1
	s_and_b64 s[0:1], exec, s[0:1]
	s_or_b64 s[6:7], s[0:1], s[6:7]
	v_add_u32_e32 v0, s8, v0
	s_andn2_b64 exec, exec, s[6:7]
	s_cbranch_execz .LBB9_5
.LBB9_3:                                ; =>This Inner Loop Header: Depth=1
	v_ashrrev_i32_e32 v1, 31, v0
	v_lshlrev_b64 v[6:7], 3, v[0:1]
	v_add_co_u32_e32 v4, vcc, s12, v6
	v_addc_co_u32_e32 v5, vcc, v8, v7, vcc
	global_load_dwordx2 v[4:5], v[4:5], off
	s_waitcnt vmcnt(0)
	v_subrev_co_u32_e32 v4, vcc, s9, v4
	v_subb_co_u32_e32 v5, vcc, v5, v9, vcc
	v_cmp_gt_i64_e32 vcc, 0, v[4:5]
	v_cmp_le_i64_e64 s[0:1], s[10:11], v[4:5]
	s_or_b64 s[0:1], vcc, s[0:1]
	s_xor_b64 s[22:23], s[0:1], -1
	s_and_saveexec_b64 s[18:19], s[22:23]
	s_cbranch_execz .LBB9_2
; %bb.4:                                ;   in Loop: Header=BB9_3 Depth=1
	v_mov_b32_e32 v1, s15
	v_add_co_u32_e32 v6, vcc, s14, v6
	v_addc_co_u32_e32 v7, vcc, v1, v7, vcc
	global_load_dwordx2 v[6:7], v[6:7], off
	v_ashrrev_i32_e32 v3, 31, v2
	v_mov_b32_e32 v10, s21
	v_add_co_u32_e32 v4, vcc, s20, v4
	v_add_u32_e32 v1, 1, v2
	v_lshlrev_b64 v[2:3], 3, v[2:3]
	v_addc_co_u32_e32 v5, vcc, v5, v10, vcc
	v_mov_b32_e32 v11, s17
	v_add_co_u32_e32 v10, vcc, s16, v2
	v_addc_co_u32_e32 v11, vcc, v11, v3, vcc
	v_mov_b32_e32 v12, s3
	v_add_co_u32_e32 v2, vcc, s2, v2
	v_addc_co_u32_e32 v3, vcc, v12, v3, vcc
	global_store_dwordx2 v[2:3], v[4:5], off
	s_waitcnt vmcnt(1)
	global_store_dwordx2 v[10:11], v[6:7], off
	v_mov_b32_e32 v2, v1
	s_branch .LBB9_2
.LBB9_5:
	s_endpgm
	.section	.rodata,"a",@progbits
	.p2align	6, 0x0
	.amdhsa_kernel _ZN9rocsparseL12ell2csr_fillILj256E21rocsparse_complex_numIfEilEEvT2_S3_S3_PKS3_PKT0_21rocsparse_index_base_PKT1_PS3_PS6_S9_
		.amdhsa_group_segment_fixed_size 0
		.amdhsa_private_segment_fixed_size 0
		.amdhsa_kernarg_size 76
		.amdhsa_user_sgpr_count 6
		.amdhsa_user_sgpr_private_segment_buffer 1
		.amdhsa_user_sgpr_dispatch_ptr 0
		.amdhsa_user_sgpr_queue_ptr 0
		.amdhsa_user_sgpr_kernarg_segment_ptr 1
		.amdhsa_user_sgpr_dispatch_id 0
		.amdhsa_user_sgpr_flat_scratch_init 0
		.amdhsa_user_sgpr_kernarg_preload_length 0
		.amdhsa_user_sgpr_kernarg_preload_offset 0
		.amdhsa_user_sgpr_private_segment_size 0
		.amdhsa_uses_dynamic_stack 0
		.amdhsa_system_sgpr_private_segment_wavefront_offset 0
		.amdhsa_system_sgpr_workgroup_id_x 1
		.amdhsa_system_sgpr_workgroup_id_y 0
		.amdhsa_system_sgpr_workgroup_id_z 0
		.amdhsa_system_sgpr_workgroup_info 0
		.amdhsa_system_vgpr_workitem_id 0
		.amdhsa_next_free_vgpr 13
		.amdhsa_next_free_sgpr 24
		.amdhsa_accum_offset 16
		.amdhsa_reserve_vcc 1
		.amdhsa_reserve_flat_scratch 0
		.amdhsa_float_round_mode_32 0
		.amdhsa_float_round_mode_16_64 0
		.amdhsa_float_denorm_mode_32 3
		.amdhsa_float_denorm_mode_16_64 3
		.amdhsa_dx10_clamp 1
		.amdhsa_ieee_mode 1
		.amdhsa_fp16_overflow 0
		.amdhsa_tg_split 0
		.amdhsa_exception_fp_ieee_invalid_op 0
		.amdhsa_exception_fp_denorm_src 0
		.amdhsa_exception_fp_ieee_div_zero 0
		.amdhsa_exception_fp_ieee_overflow 0
		.amdhsa_exception_fp_ieee_underflow 0
		.amdhsa_exception_fp_ieee_inexact 0
		.amdhsa_exception_int_div_zero 0
	.end_amdhsa_kernel
	.section	.text._ZN9rocsparseL12ell2csr_fillILj256E21rocsparse_complex_numIfEilEEvT2_S3_S3_PKS3_PKT0_21rocsparse_index_base_PKT1_PS3_PS6_S9_,"axG",@progbits,_ZN9rocsparseL12ell2csr_fillILj256E21rocsparse_complex_numIfEilEEvT2_S3_S3_PKS3_PKT0_21rocsparse_index_base_PKT1_PS3_PS6_S9_,comdat
.Lfunc_end9:
	.size	_ZN9rocsparseL12ell2csr_fillILj256E21rocsparse_complex_numIfEilEEvT2_S3_S3_PKS3_PKT0_21rocsparse_index_base_PKT1_PS3_PS6_S9_, .Lfunc_end9-_ZN9rocsparseL12ell2csr_fillILj256E21rocsparse_complex_numIfEilEEvT2_S3_S3_PKS3_PKT0_21rocsparse_index_base_PKT1_PS3_PS6_S9_
                                        ; -- End function
	.section	.AMDGPU.csdata,"",@progbits
; Kernel info:
; codeLenInByte = 388
; NumSgprs: 28
; NumVgprs: 13
; NumAgprs: 0
; TotalNumVgprs: 13
; ScratchSize: 0
; MemoryBound: 0
; FloatMode: 240
; IeeeMode: 1
; LDSByteSize: 0 bytes/workgroup (compile time only)
; SGPRBlocks: 3
; VGPRBlocks: 1
; NumSGPRsForWavesPerEU: 28
; NumVGPRsForWavesPerEU: 13
; AccumOffset: 16
; Occupancy: 8
; WaveLimiterHint : 0
; COMPUTE_PGM_RSRC2:SCRATCH_EN: 0
; COMPUTE_PGM_RSRC2:USER_SGPR: 6
; COMPUTE_PGM_RSRC2:TRAP_HANDLER: 0
; COMPUTE_PGM_RSRC2:TGID_X_EN: 1
; COMPUTE_PGM_RSRC2:TGID_Y_EN: 0
; COMPUTE_PGM_RSRC2:TGID_Z_EN: 0
; COMPUTE_PGM_RSRC2:TIDIG_COMP_CNT: 0
; COMPUTE_PGM_RSRC3_GFX90A:ACCUM_OFFSET: 3
; COMPUTE_PGM_RSRC3_GFX90A:TG_SPLIT: 0
	.section	.text._ZN9rocsparseL12ell2csr_fillILj256EdilEEvT2_S1_S1_PKS1_PKT0_21rocsparse_index_base_PKT1_PS1_PS4_S7_,"axG",@progbits,_ZN9rocsparseL12ell2csr_fillILj256EdilEEvT2_S1_S1_PKS1_PKT0_21rocsparse_index_base_PKT1_PS1_PS4_S7_,comdat
	.globl	_ZN9rocsparseL12ell2csr_fillILj256EdilEEvT2_S1_S1_PKS1_PKT0_21rocsparse_index_base_PKT1_PS1_PS4_S7_ ; -- Begin function _ZN9rocsparseL12ell2csr_fillILj256EdilEEvT2_S1_S1_PKS1_PKT0_21rocsparse_index_base_PKT1_PS1_PS4_S7_
	.p2align	8
	.type	_ZN9rocsparseL12ell2csr_fillILj256EdilEEvT2_S1_S1_PKS1_PKT0_21rocsparse_index_base_PKT1_PS1_PS4_S7_,@function
_ZN9rocsparseL12ell2csr_fillILj256EdilEEvT2_S1_S1_PKS1_PKT0_21rocsparse_index_base_PKT1_PS1_PS4_S7_: ; @_ZN9rocsparseL12ell2csr_fillILj256EdilEEvT2_S1_S1_PKS1_PKT0_21rocsparse_index_base_PKT1_PS1_PS4_S7_
; %bb.0:
	s_load_dwordx4 s[8:11], s[4:5], 0x0
	s_load_dwordx2 s[18:19], s[4:5], 0x10
	v_lshl_or_b32 v0, s6, 8, v0
	v_mov_b32_e32 v1, 0
	s_mov_b64 s[6:7], 0
	s_waitcnt lgkmcnt(0)
	v_cmp_gt_i64_e32 vcc, s[8:9], v[0:1]
	v_cmp_gt_i64_e64 s[0:1], s[18:19], 0
	s_and_b64 s[0:1], vcc, s[0:1]
	s_and_saveexec_b64 s[2:3], s[0:1]
	s_cbranch_execz .LBB10_5
; %bb.1:
	s_load_dwordx4 s[0:3], s[4:5], 0x30
	s_load_dwordx2 s[16:17], s[4:5], 0x40
	v_lshlrev_b64 v[2:3], 2, v[0:1]
	s_waitcnt lgkmcnt(0)
	v_mov_b32_e32 v1, s1
	v_add_co_u32_e32 v2, vcc, s0, v2
	v_addc_co_u32_e32 v3, vcc, v1, v3, vcc
	global_load_dword v1, v[2:3], off
	s_load_dwordx4 s[12:15], s[4:5], 0x18
	s_load_dword s9, s[4:5], 0x28
	s_load_dword s20, s[4:5], 0x48
	s_mov_b32 s0, 0
	s_add_u32 s4, s18, -1
	s_mov_b32 s21, s0
	s_addc_u32 s5, s19, -1
	s_waitcnt lgkmcnt(0)
	v_mov_b32_e32 v8, s13
	v_mov_b32_e32 v9, s0
	s_waitcnt vmcnt(0)
	v_subrev_u32_e32 v2, s20, v1
	s_branch .LBB10_3
.LBB10_2:                               ;   in Loop: Header=BB10_3 Depth=1
	s_or_b64 exec, exec, s[18:19]
	s_cmp_eq_u64 s[4:5], 0
	s_cselect_b64 s[18:19], -1, 0
	s_or_b64 s[0:1], s[0:1], s[18:19]
	s_add_u32 s4, s4, -1
	s_addc_u32 s5, s5, -1
	s_and_b64 s[0:1], exec, s[0:1]
	s_or_b64 s[6:7], s[0:1], s[6:7]
	v_add_u32_e32 v0, s8, v0
	s_andn2_b64 exec, exec, s[6:7]
	s_cbranch_execz .LBB10_5
.LBB10_3:                               ; =>This Inner Loop Header: Depth=1
	v_ashrrev_i32_e32 v1, 31, v0
	v_lshlrev_b64 v[6:7], 3, v[0:1]
	v_add_co_u32_e32 v4, vcc, s12, v6
	v_addc_co_u32_e32 v5, vcc, v8, v7, vcc
	global_load_dwordx2 v[4:5], v[4:5], off
	s_waitcnt vmcnt(0)
	v_subrev_co_u32_e32 v4, vcc, s9, v4
	v_subb_co_u32_e32 v5, vcc, v5, v9, vcc
	v_cmp_gt_i64_e32 vcc, 0, v[4:5]
	v_cmp_le_i64_e64 s[0:1], s[10:11], v[4:5]
	s_or_b64 s[0:1], vcc, s[0:1]
	s_xor_b64 s[22:23], s[0:1], -1
	s_and_saveexec_b64 s[18:19], s[22:23]
	s_cbranch_execz .LBB10_2
; %bb.4:                                ;   in Loop: Header=BB10_3 Depth=1
	v_mov_b32_e32 v1, s15
	v_add_co_u32_e32 v6, vcc, s14, v6
	v_addc_co_u32_e32 v7, vcc, v1, v7, vcc
	global_load_dwordx2 v[6:7], v[6:7], off
	v_ashrrev_i32_e32 v3, 31, v2
	v_mov_b32_e32 v10, s21
	v_add_co_u32_e32 v4, vcc, s20, v4
	v_add_u32_e32 v1, 1, v2
	v_lshlrev_b64 v[2:3], 3, v[2:3]
	v_addc_co_u32_e32 v5, vcc, v5, v10, vcc
	v_mov_b32_e32 v11, s17
	v_add_co_u32_e32 v10, vcc, s16, v2
	v_addc_co_u32_e32 v11, vcc, v11, v3, vcc
	v_mov_b32_e32 v12, s3
	v_add_co_u32_e32 v2, vcc, s2, v2
	v_addc_co_u32_e32 v3, vcc, v12, v3, vcc
	global_store_dwordx2 v[2:3], v[4:5], off
	s_waitcnt vmcnt(1)
	global_store_dwordx2 v[10:11], v[6:7], off
	v_mov_b32_e32 v2, v1
	s_branch .LBB10_2
.LBB10_5:
	s_endpgm
	.section	.rodata,"a",@progbits
	.p2align	6, 0x0
	.amdhsa_kernel _ZN9rocsparseL12ell2csr_fillILj256EdilEEvT2_S1_S1_PKS1_PKT0_21rocsparse_index_base_PKT1_PS1_PS4_S7_
		.amdhsa_group_segment_fixed_size 0
		.amdhsa_private_segment_fixed_size 0
		.amdhsa_kernarg_size 76
		.amdhsa_user_sgpr_count 6
		.amdhsa_user_sgpr_private_segment_buffer 1
		.amdhsa_user_sgpr_dispatch_ptr 0
		.amdhsa_user_sgpr_queue_ptr 0
		.amdhsa_user_sgpr_kernarg_segment_ptr 1
		.amdhsa_user_sgpr_dispatch_id 0
		.amdhsa_user_sgpr_flat_scratch_init 0
		.amdhsa_user_sgpr_kernarg_preload_length 0
		.amdhsa_user_sgpr_kernarg_preload_offset 0
		.amdhsa_user_sgpr_private_segment_size 0
		.amdhsa_uses_dynamic_stack 0
		.amdhsa_system_sgpr_private_segment_wavefront_offset 0
		.amdhsa_system_sgpr_workgroup_id_x 1
		.amdhsa_system_sgpr_workgroup_id_y 0
		.amdhsa_system_sgpr_workgroup_id_z 0
		.amdhsa_system_sgpr_workgroup_info 0
		.amdhsa_system_vgpr_workitem_id 0
		.amdhsa_next_free_vgpr 13
		.amdhsa_next_free_sgpr 24
		.amdhsa_accum_offset 16
		.amdhsa_reserve_vcc 1
		.amdhsa_reserve_flat_scratch 0
		.amdhsa_float_round_mode_32 0
		.amdhsa_float_round_mode_16_64 0
		.amdhsa_float_denorm_mode_32 3
		.amdhsa_float_denorm_mode_16_64 3
		.amdhsa_dx10_clamp 1
		.amdhsa_ieee_mode 1
		.amdhsa_fp16_overflow 0
		.amdhsa_tg_split 0
		.amdhsa_exception_fp_ieee_invalid_op 0
		.amdhsa_exception_fp_denorm_src 0
		.amdhsa_exception_fp_ieee_div_zero 0
		.amdhsa_exception_fp_ieee_overflow 0
		.amdhsa_exception_fp_ieee_underflow 0
		.amdhsa_exception_fp_ieee_inexact 0
		.amdhsa_exception_int_div_zero 0
	.end_amdhsa_kernel
	.section	.text._ZN9rocsparseL12ell2csr_fillILj256EdilEEvT2_S1_S1_PKS1_PKT0_21rocsparse_index_base_PKT1_PS1_PS4_S7_,"axG",@progbits,_ZN9rocsparseL12ell2csr_fillILj256EdilEEvT2_S1_S1_PKS1_PKT0_21rocsparse_index_base_PKT1_PS1_PS4_S7_,comdat
.Lfunc_end10:
	.size	_ZN9rocsparseL12ell2csr_fillILj256EdilEEvT2_S1_S1_PKS1_PKT0_21rocsparse_index_base_PKT1_PS1_PS4_S7_, .Lfunc_end10-_ZN9rocsparseL12ell2csr_fillILj256EdilEEvT2_S1_S1_PKS1_PKT0_21rocsparse_index_base_PKT1_PS1_PS4_S7_
                                        ; -- End function
	.section	.AMDGPU.csdata,"",@progbits
; Kernel info:
; codeLenInByte = 388
; NumSgprs: 28
; NumVgprs: 13
; NumAgprs: 0
; TotalNumVgprs: 13
; ScratchSize: 0
; MemoryBound: 0
; FloatMode: 240
; IeeeMode: 1
; LDSByteSize: 0 bytes/workgroup (compile time only)
; SGPRBlocks: 3
; VGPRBlocks: 1
; NumSGPRsForWavesPerEU: 28
; NumVGPRsForWavesPerEU: 13
; AccumOffset: 16
; Occupancy: 8
; WaveLimiterHint : 0
; COMPUTE_PGM_RSRC2:SCRATCH_EN: 0
; COMPUTE_PGM_RSRC2:USER_SGPR: 6
; COMPUTE_PGM_RSRC2:TRAP_HANDLER: 0
; COMPUTE_PGM_RSRC2:TGID_X_EN: 1
; COMPUTE_PGM_RSRC2:TGID_Y_EN: 0
; COMPUTE_PGM_RSRC2:TGID_Z_EN: 0
; COMPUTE_PGM_RSRC2:TIDIG_COMP_CNT: 0
; COMPUTE_PGM_RSRC3_GFX90A:ACCUM_OFFSET: 3
; COMPUTE_PGM_RSRC3_GFX90A:TG_SPLIT: 0
	.section	.text._ZN9rocsparseL12ell2csr_fillILj256E21rocsparse_complex_numIdEilEEvT2_S3_S3_PKS3_PKT0_21rocsparse_index_base_PKT1_PS3_PS6_S9_,"axG",@progbits,_ZN9rocsparseL12ell2csr_fillILj256E21rocsparse_complex_numIdEilEEvT2_S3_S3_PKS3_PKT0_21rocsparse_index_base_PKT1_PS3_PS6_S9_,comdat
	.globl	_ZN9rocsparseL12ell2csr_fillILj256E21rocsparse_complex_numIdEilEEvT2_S3_S3_PKS3_PKT0_21rocsparse_index_base_PKT1_PS3_PS6_S9_ ; -- Begin function _ZN9rocsparseL12ell2csr_fillILj256E21rocsparse_complex_numIdEilEEvT2_S3_S3_PKS3_PKT0_21rocsparse_index_base_PKT1_PS3_PS6_S9_
	.p2align	8
	.type	_ZN9rocsparseL12ell2csr_fillILj256E21rocsparse_complex_numIdEilEEvT2_S3_S3_PKS3_PKT0_21rocsparse_index_base_PKT1_PS3_PS6_S9_,@function
_ZN9rocsparseL12ell2csr_fillILj256E21rocsparse_complex_numIdEilEEvT2_S3_S3_PKS3_PKT0_21rocsparse_index_base_PKT1_PS3_PS6_S9_: ; @_ZN9rocsparseL12ell2csr_fillILj256E21rocsparse_complex_numIdEilEEvT2_S3_S3_PKS3_PKT0_21rocsparse_index_base_PKT1_PS3_PS6_S9_
; %bb.0:
	s_load_dwordx4 s[8:11], s[4:5], 0x0
	s_load_dwordx2 s[18:19], s[4:5], 0x10
	v_lshl_or_b32 v0, s6, 8, v0
	v_mov_b32_e32 v1, 0
	s_mov_b64 s[6:7], 0
	s_waitcnt lgkmcnt(0)
	v_cmp_gt_i64_e32 vcc, s[8:9], v[0:1]
	v_cmp_gt_i64_e64 s[0:1], s[18:19], 0
	s_and_b64 s[0:1], vcc, s[0:1]
	s_and_saveexec_b64 s[2:3], s[0:1]
	s_cbranch_execz .LBB11_5
; %bb.1:
	s_load_dwordx4 s[0:3], s[4:5], 0x30
	s_load_dwordx2 s[16:17], s[4:5], 0x40
	v_lshlrev_b64 v[2:3], 2, v[0:1]
	s_waitcnt lgkmcnt(0)
	v_mov_b32_e32 v1, s1
	v_add_co_u32_e32 v2, vcc, s0, v2
	v_addc_co_u32_e32 v3, vcc, v1, v3, vcc
	global_load_dword v1, v[2:3], off
	s_load_dwordx4 s[12:15], s[4:5], 0x18
	s_load_dword s9, s[4:5], 0x28
	s_load_dword s20, s[4:5], 0x48
	s_mov_b32 s0, 0
	s_add_u32 s4, s18, -1
	s_mov_b32 s21, s0
	s_addc_u32 s5, s19, -1
	s_waitcnt lgkmcnt(0)
	v_mov_b32_e32 v6, s13
	v_mov_b32_e32 v7, s0
	s_waitcnt vmcnt(0)
	v_subrev_u32_e32 v2, s20, v1
	s_branch .LBB11_3
.LBB11_2:                               ;   in Loop: Header=BB11_3 Depth=1
	s_or_b64 exec, exec, s[18:19]
	s_cmp_eq_u64 s[4:5], 0
	s_cselect_b64 s[18:19], -1, 0
	s_or_b64 s[0:1], s[0:1], s[18:19]
	s_add_u32 s4, s4, -1
	s_addc_u32 s5, s5, -1
	s_and_b64 s[0:1], exec, s[0:1]
	s_or_b64 s[6:7], s[0:1], s[6:7]
	v_add_u32_e32 v0, s8, v0
	s_andn2_b64 exec, exec, s[6:7]
	s_cbranch_execz .LBB11_5
.LBB11_3:                               ; =>This Inner Loop Header: Depth=1
	v_ashrrev_i32_e32 v1, 31, v0
	v_lshlrev_b64 v[4:5], 3, v[0:1]
	v_add_co_u32_e32 v4, vcc, s12, v4
	v_addc_co_u32_e32 v5, vcc, v6, v5, vcc
	global_load_dwordx2 v[4:5], v[4:5], off
	s_waitcnt vmcnt(0)
	v_subrev_co_u32_e32 v4, vcc, s9, v4
	v_subb_co_u32_e32 v5, vcc, v5, v7, vcc
	v_cmp_gt_i64_e32 vcc, 0, v[4:5]
	v_cmp_le_i64_e64 s[0:1], s[10:11], v[4:5]
	s_or_b64 s[0:1], vcc, s[0:1]
	s_xor_b64 s[22:23], s[0:1], -1
	s_and_saveexec_b64 s[18:19], s[22:23]
	s_cbranch_execz .LBB11_2
; %bb.4:                                ;   in Loop: Header=BB11_3 Depth=1
	v_lshlrev_b64 v[8:9], 4, v[0:1]
	v_mov_b32_e32 v1, s15
	v_add_co_u32_e32 v8, vcc, s14, v8
	v_addc_co_u32_e32 v9, vcc, v1, v9, vcc
	global_load_dwordx4 v[8:11], v[8:9], off
	v_ashrrev_i32_e32 v3, 31, v2
	v_mov_b32_e32 v16, s21
	v_add_co_u32_e32 v4, vcc, s20, v4
	v_lshlrev_b64 v[12:13], 4, v[2:3]
	v_addc_co_u32_e32 v5, vcc, v5, v16, vcc
	v_mov_b32_e32 v14, s17
	v_add_co_u32_e32 v12, vcc, s16, v12
	v_add_u32_e32 v1, 1, v2
	v_lshlrev_b64 v[2:3], 3, v[2:3]
	v_addc_co_u32_e32 v13, vcc, v14, v13, vcc
	v_mov_b32_e32 v15, s3
	v_add_co_u32_e32 v2, vcc, s2, v2
	v_addc_co_u32_e32 v3, vcc, v15, v3, vcc
	global_store_dwordx2 v[2:3], v[4:5], off
	s_waitcnt vmcnt(1)
	global_store_dwordx4 v[12:13], v[8:11], off
	v_mov_b32_e32 v2, v1
	s_branch .LBB11_2
.LBB11_5:
	s_endpgm
	.section	.rodata,"a",@progbits
	.p2align	6, 0x0
	.amdhsa_kernel _ZN9rocsparseL12ell2csr_fillILj256E21rocsparse_complex_numIdEilEEvT2_S3_S3_PKS3_PKT0_21rocsparse_index_base_PKT1_PS3_PS6_S9_
		.amdhsa_group_segment_fixed_size 0
		.amdhsa_private_segment_fixed_size 0
		.amdhsa_kernarg_size 76
		.amdhsa_user_sgpr_count 6
		.amdhsa_user_sgpr_private_segment_buffer 1
		.amdhsa_user_sgpr_dispatch_ptr 0
		.amdhsa_user_sgpr_queue_ptr 0
		.amdhsa_user_sgpr_kernarg_segment_ptr 1
		.amdhsa_user_sgpr_dispatch_id 0
		.amdhsa_user_sgpr_flat_scratch_init 0
		.amdhsa_user_sgpr_kernarg_preload_length 0
		.amdhsa_user_sgpr_kernarg_preload_offset 0
		.amdhsa_user_sgpr_private_segment_size 0
		.amdhsa_uses_dynamic_stack 0
		.amdhsa_system_sgpr_private_segment_wavefront_offset 0
		.amdhsa_system_sgpr_workgroup_id_x 1
		.amdhsa_system_sgpr_workgroup_id_y 0
		.amdhsa_system_sgpr_workgroup_id_z 0
		.amdhsa_system_sgpr_workgroup_info 0
		.amdhsa_system_vgpr_workitem_id 0
		.amdhsa_next_free_vgpr 17
		.amdhsa_next_free_sgpr 24
		.amdhsa_accum_offset 20
		.amdhsa_reserve_vcc 1
		.amdhsa_reserve_flat_scratch 0
		.amdhsa_float_round_mode_32 0
		.amdhsa_float_round_mode_16_64 0
		.amdhsa_float_denorm_mode_32 3
		.amdhsa_float_denorm_mode_16_64 3
		.amdhsa_dx10_clamp 1
		.amdhsa_ieee_mode 1
		.amdhsa_fp16_overflow 0
		.amdhsa_tg_split 0
		.amdhsa_exception_fp_ieee_invalid_op 0
		.amdhsa_exception_fp_denorm_src 0
		.amdhsa_exception_fp_ieee_div_zero 0
		.amdhsa_exception_fp_ieee_overflow 0
		.amdhsa_exception_fp_ieee_underflow 0
		.amdhsa_exception_fp_ieee_inexact 0
		.amdhsa_exception_int_div_zero 0
	.end_amdhsa_kernel
	.section	.text._ZN9rocsparseL12ell2csr_fillILj256E21rocsparse_complex_numIdEilEEvT2_S3_S3_PKS3_PKT0_21rocsparse_index_base_PKT1_PS3_PS6_S9_,"axG",@progbits,_ZN9rocsparseL12ell2csr_fillILj256E21rocsparse_complex_numIdEilEEvT2_S3_S3_PKS3_PKT0_21rocsparse_index_base_PKT1_PS3_PS6_S9_,comdat
.Lfunc_end11:
	.size	_ZN9rocsparseL12ell2csr_fillILj256E21rocsparse_complex_numIdEilEEvT2_S3_S3_PKS3_PKT0_21rocsparse_index_base_PKT1_PS3_PS6_S9_, .Lfunc_end11-_ZN9rocsparseL12ell2csr_fillILj256E21rocsparse_complex_numIdEilEEvT2_S3_S3_PKS3_PKT0_21rocsparse_index_base_PKT1_PS3_PS6_S9_
                                        ; -- End function
	.section	.AMDGPU.csdata,"",@progbits
; Kernel info:
; codeLenInByte = 404
; NumSgprs: 28
; NumVgprs: 17
; NumAgprs: 0
; TotalNumVgprs: 17
; ScratchSize: 0
; MemoryBound: 0
; FloatMode: 240
; IeeeMode: 1
; LDSByteSize: 0 bytes/workgroup (compile time only)
; SGPRBlocks: 3
; VGPRBlocks: 2
; NumSGPRsForWavesPerEU: 28
; NumVGPRsForWavesPerEU: 17
; AccumOffset: 20
; Occupancy: 8
; WaveLimiterHint : 0
; COMPUTE_PGM_RSRC2:SCRATCH_EN: 0
; COMPUTE_PGM_RSRC2:USER_SGPR: 6
; COMPUTE_PGM_RSRC2:TRAP_HANDLER: 0
; COMPUTE_PGM_RSRC2:TGID_X_EN: 1
; COMPUTE_PGM_RSRC2:TGID_Y_EN: 0
; COMPUTE_PGM_RSRC2:TGID_Z_EN: 0
; COMPUTE_PGM_RSRC2:TIDIG_COMP_CNT: 0
; COMPUTE_PGM_RSRC3_GFX90A:ACCUM_OFFSET: 4
; COMPUTE_PGM_RSRC3_GFX90A:TG_SPLIT: 0
	.section	.text._ZN9rocsparseL12ell2csr_fillILj256EfllEEvT2_S1_S1_PKS1_PKT0_21rocsparse_index_base_PKT1_PS1_PS4_S7_,"axG",@progbits,_ZN9rocsparseL12ell2csr_fillILj256EfllEEvT2_S1_S1_PKS1_PKT0_21rocsparse_index_base_PKT1_PS1_PS4_S7_,comdat
	.globl	_ZN9rocsparseL12ell2csr_fillILj256EfllEEvT2_S1_S1_PKS1_PKT0_21rocsparse_index_base_PKT1_PS1_PS4_S7_ ; -- Begin function _ZN9rocsparseL12ell2csr_fillILj256EfllEEvT2_S1_S1_PKS1_PKT0_21rocsparse_index_base_PKT1_PS1_PS4_S7_
	.p2align	8
	.type	_ZN9rocsparseL12ell2csr_fillILj256EfllEEvT2_S1_S1_PKS1_PKT0_21rocsparse_index_base_PKT1_PS1_PS4_S7_,@function
_ZN9rocsparseL12ell2csr_fillILj256EfllEEvT2_S1_S1_PKS1_PKT0_21rocsparse_index_base_PKT1_PS1_PS4_S7_: ; @_ZN9rocsparseL12ell2csr_fillILj256EfllEEvT2_S1_S1_PKS1_PKT0_21rocsparse_index_base_PKT1_PS1_PS4_S7_
; %bb.0:
	s_load_dwordx4 s[0:3], s[4:5], 0x0
	v_lshl_or_b32 v0, s6, 8, v0
	v_mov_b32_e32 v1, 0
	s_waitcnt lgkmcnt(0)
	v_cmp_gt_i64_e32 vcc, s[0:1], v[0:1]
	s_and_saveexec_b64 s[6:7], vcc
	s_cbranch_execz .LBB12_6
; %bb.1:
	s_load_dwordx2 s[12:13], s[4:5], 0x10
	s_waitcnt lgkmcnt(0)
	v_cmp_lt_i64_e64 s[6:7], s[12:13], 1
	s_and_b64 vcc, exec, s[6:7]
	s_cbranch_vccnz .LBB12_6
; %bb.2:
	s_load_dwordx4 s[8:11], s[4:5], 0x30
	v_lshlrev_b64 v[2:3], 3, v[0:1]
	v_lshlrev_b64 v[6:7], 2, v[0:1]
	s_mov_b32 s20, 0
	v_mov_b32_e32 v8, s20
	s_waitcnt lgkmcnt(0)
	v_mov_b32_e32 v5, s9
	v_add_co_u32_e32 v4, vcc, s8, v2
	v_addc_co_u32_e32 v5, vcc, v5, v3, vcc
	global_load_dwordx2 v[4:5], v[4:5], off
	s_load_dwordx2 s[6:7], s[4:5], 0x40
	s_load_dwordx4 s[24:27], s[4:5], 0x18
	s_load_dword s18, s[4:5], 0x28
	s_load_dword s19, s[4:5], 0x48
	s_add_u32 s4, s12, -1
	s_addc_u32 s5, s13, -1
	s_waitcnt lgkmcnt(0)
	v_mov_b32_e32 v1, s25
	v_add_co_u32_e32 v0, vcc, s24, v2
	v_addc_co_u32_e32 v1, vcc, v1, v3, vcc
	v_mov_b32_e32 v10, s27
	v_add_co_u32_e32 v2, vcc, s26, v6
	v_addc_co_u32_e32 v3, vcc, v10, v7, vcc
	s_lshl_b64 s[12:13], s[0:1], 3
	s_lshl_b64 s[14:15], s[0:1], 2
	s_mov_b64 s[8:9], 0
	v_mov_b32_e32 v9, s13
	v_mov_b32_e32 v10, s15
	s_waitcnt vmcnt(0)
	v_subrev_co_u32_e32 v4, vcc, s19, v4
	v_subbrev_co_u32_e32 v5, vcc, 0, v5, vcc
	s_branch .LBB12_4
.LBB12_3:                               ;   in Loop: Header=BB12_4 Depth=1
	s_or_b64 exec, exec, s[16:17]
	s_cmp_eq_u64 s[4:5], 0
	s_cselect_b64 s[16:17], -1, 0
	s_or_b64 s[0:1], s[0:1], s[16:17]
	s_add_u32 s4, s4, -1
	v_add_co_u32_e32 v0, vcc, s12, v0
	s_addc_u32 s5, s5, -1
	v_addc_co_u32_e32 v1, vcc, v1, v9, vcc
	s_and_b64 s[0:1], exec, s[0:1]
	v_add_co_u32_e32 v2, vcc, s14, v2
	s_or_b64 s[8:9], s[0:1], s[8:9]
	v_addc_co_u32_e32 v3, vcc, v3, v10, vcc
	s_andn2_b64 exec, exec, s[8:9]
	s_cbranch_execz .LBB12_6
.LBB12_4:                               ; =>This Inner Loop Header: Depth=1
	global_load_dwordx2 v[6:7], v[0:1], off
	s_waitcnt vmcnt(0)
	v_subrev_co_u32_e32 v6, vcc, s18, v6
	v_subb_co_u32_e32 v7, vcc, v7, v8, vcc
	v_cmp_gt_i64_e32 vcc, 0, v[6:7]
	v_cmp_le_i64_e64 s[0:1], s[2:3], v[6:7]
	s_or_b64 s[0:1], vcc, s[0:1]
	s_xor_b64 s[22:23], s[0:1], -1
	s_and_saveexec_b64 s[16:17], s[22:23]
	s_cbranch_execz .LBB12_3
; %bb.5:                                ;   in Loop: Header=BB12_4 Depth=1
	global_load_dword v11, v[2:3], off
	v_add_co_u32_e32 v12, vcc, 1, v4
	v_addc_co_u32_e32 v13, vcc, 0, v5, vcc
	v_lshlrev_b64 v[14:15], 2, v[4:5]
	v_mov_b32_e32 v16, s7
	v_add_co_u32_e32 v14, vcc, s6, v14
	v_lshlrev_b64 v[4:5], 3, v[4:5]
	v_addc_co_u32_e32 v15, vcc, v16, v15, vcc
	v_mov_b32_e32 v17, s11
	v_add_co_u32_e32 v4, vcc, s10, v4
	v_addc_co_u32_e32 v5, vcc, v17, v5, vcc
	v_mov_b32_e32 v18, s20
	v_add_co_u32_e32 v6, vcc, s19, v6
	v_addc_co_u32_e32 v7, vcc, v7, v18, vcc
	global_store_dwordx2 v[4:5], v[6:7], off
	s_waitcnt vmcnt(1)
	global_store_dword v[14:15], v11, off
	v_pk_mov_b32 v[4:5], v[12:13], v[12:13] op_sel:[0,1]
	s_branch .LBB12_3
.LBB12_6:
	s_endpgm
	.section	.rodata,"a",@progbits
	.p2align	6, 0x0
	.amdhsa_kernel _ZN9rocsparseL12ell2csr_fillILj256EfllEEvT2_S1_S1_PKS1_PKT0_21rocsparse_index_base_PKT1_PS1_PS4_S7_
		.amdhsa_group_segment_fixed_size 0
		.amdhsa_private_segment_fixed_size 0
		.amdhsa_kernarg_size 76
		.amdhsa_user_sgpr_count 6
		.amdhsa_user_sgpr_private_segment_buffer 1
		.amdhsa_user_sgpr_dispatch_ptr 0
		.amdhsa_user_sgpr_queue_ptr 0
		.amdhsa_user_sgpr_kernarg_segment_ptr 1
		.amdhsa_user_sgpr_dispatch_id 0
		.amdhsa_user_sgpr_flat_scratch_init 0
		.amdhsa_user_sgpr_kernarg_preload_length 0
		.amdhsa_user_sgpr_kernarg_preload_offset 0
		.amdhsa_user_sgpr_private_segment_size 0
		.amdhsa_uses_dynamic_stack 0
		.amdhsa_system_sgpr_private_segment_wavefront_offset 0
		.amdhsa_system_sgpr_workgroup_id_x 1
		.amdhsa_system_sgpr_workgroup_id_y 0
		.amdhsa_system_sgpr_workgroup_id_z 0
		.amdhsa_system_sgpr_workgroup_info 0
		.amdhsa_system_vgpr_workitem_id 0
		.amdhsa_next_free_vgpr 19
		.amdhsa_next_free_sgpr 28
		.amdhsa_accum_offset 20
		.amdhsa_reserve_vcc 1
		.amdhsa_reserve_flat_scratch 0
		.amdhsa_float_round_mode_32 0
		.amdhsa_float_round_mode_16_64 0
		.amdhsa_float_denorm_mode_32 3
		.amdhsa_float_denorm_mode_16_64 3
		.amdhsa_dx10_clamp 1
		.amdhsa_ieee_mode 1
		.amdhsa_fp16_overflow 0
		.amdhsa_tg_split 0
		.amdhsa_exception_fp_ieee_invalid_op 0
		.amdhsa_exception_fp_denorm_src 0
		.amdhsa_exception_fp_ieee_div_zero 0
		.amdhsa_exception_fp_ieee_overflow 0
		.amdhsa_exception_fp_ieee_underflow 0
		.amdhsa_exception_fp_ieee_inexact 0
		.amdhsa_exception_int_div_zero 0
	.end_amdhsa_kernel
	.section	.text._ZN9rocsparseL12ell2csr_fillILj256EfllEEvT2_S1_S1_PKS1_PKT0_21rocsparse_index_base_PKT1_PS1_PS4_S7_,"axG",@progbits,_ZN9rocsparseL12ell2csr_fillILj256EfllEEvT2_S1_S1_PKS1_PKT0_21rocsparse_index_base_PKT1_PS1_PS4_S7_,comdat
.Lfunc_end12:
	.size	_ZN9rocsparseL12ell2csr_fillILj256EfllEEvT2_S1_S1_PKS1_PKT0_21rocsparse_index_base_PKT1_PS1_PS4_S7_, .Lfunc_end12-_ZN9rocsparseL12ell2csr_fillILj256EfllEEvT2_S1_S1_PKS1_PKT0_21rocsparse_index_base_PKT1_PS1_PS4_S7_
                                        ; -- End function
	.section	.AMDGPU.csdata,"",@progbits
; Kernel info:
; codeLenInByte = 432
; NumSgprs: 32
; NumVgprs: 19
; NumAgprs: 0
; TotalNumVgprs: 19
; ScratchSize: 0
; MemoryBound: 0
; FloatMode: 240
; IeeeMode: 1
; LDSByteSize: 0 bytes/workgroup (compile time only)
; SGPRBlocks: 3
; VGPRBlocks: 2
; NumSGPRsForWavesPerEU: 32
; NumVGPRsForWavesPerEU: 19
; AccumOffset: 20
; Occupancy: 8
; WaveLimiterHint : 0
; COMPUTE_PGM_RSRC2:SCRATCH_EN: 0
; COMPUTE_PGM_RSRC2:USER_SGPR: 6
; COMPUTE_PGM_RSRC2:TRAP_HANDLER: 0
; COMPUTE_PGM_RSRC2:TGID_X_EN: 1
; COMPUTE_PGM_RSRC2:TGID_Y_EN: 0
; COMPUTE_PGM_RSRC2:TGID_Z_EN: 0
; COMPUTE_PGM_RSRC2:TIDIG_COMP_CNT: 0
; COMPUTE_PGM_RSRC3_GFX90A:ACCUM_OFFSET: 4
; COMPUTE_PGM_RSRC3_GFX90A:TG_SPLIT: 0
	.section	.text._ZN9rocsparseL12ell2csr_fillILj256E21rocsparse_complex_numIfEllEEvT2_S3_S3_PKS3_PKT0_21rocsparse_index_base_PKT1_PS3_PS6_S9_,"axG",@progbits,_ZN9rocsparseL12ell2csr_fillILj256E21rocsparse_complex_numIfEllEEvT2_S3_S3_PKS3_PKT0_21rocsparse_index_base_PKT1_PS3_PS6_S9_,comdat
	.globl	_ZN9rocsparseL12ell2csr_fillILj256E21rocsparse_complex_numIfEllEEvT2_S3_S3_PKS3_PKT0_21rocsparse_index_base_PKT1_PS3_PS6_S9_ ; -- Begin function _ZN9rocsparseL12ell2csr_fillILj256E21rocsparse_complex_numIfEllEEvT2_S3_S3_PKS3_PKT0_21rocsparse_index_base_PKT1_PS3_PS6_S9_
	.p2align	8
	.type	_ZN9rocsparseL12ell2csr_fillILj256E21rocsparse_complex_numIfEllEEvT2_S3_S3_PKS3_PKT0_21rocsparse_index_base_PKT1_PS3_PS6_S9_,@function
_ZN9rocsparseL12ell2csr_fillILj256E21rocsparse_complex_numIfEllEEvT2_S3_S3_PKS3_PKT0_21rocsparse_index_base_PKT1_PS3_PS6_S9_: ; @_ZN9rocsparseL12ell2csr_fillILj256E21rocsparse_complex_numIfEllEEvT2_S3_S3_PKS3_PKT0_21rocsparse_index_base_PKT1_PS3_PS6_S9_
; %bb.0:
	s_load_dwordx4 s[0:3], s[4:5], 0x0
	v_lshl_or_b32 v0, s6, 8, v0
	v_mov_b32_e32 v1, 0
	s_waitcnt lgkmcnt(0)
	v_cmp_gt_i64_e32 vcc, s[0:1], v[0:1]
	s_and_saveexec_b64 s[6:7], vcc
	s_cbranch_execz .LBB13_6
; %bb.1:
	s_load_dwordx2 s[16:17], s[4:5], 0x10
	s_waitcnt lgkmcnt(0)
	v_cmp_lt_i64_e64 s[6:7], s[16:17], 1
	s_and_b64 vcc, exec, s[6:7]
	s_cbranch_vccnz .LBB13_6
; %bb.2:
	s_load_dwordx4 s[8:11], s[4:5], 0x30
	v_lshlrev_b64 v[0:1], 3, v[0:1]
	s_mov_b32 s22, 0
	v_mov_b32_e32 v6, s22
	s_waitcnt lgkmcnt(0)
	v_mov_b32_e32 v3, s9
	v_add_co_u32_e32 v2, vcc, s8, v0
	v_addc_co_u32_e32 v3, vcc, v3, v1, vcc
	global_load_dwordx2 v[2:3], v[2:3], off
	s_load_dwordx2 s[6:7], s[4:5], 0x40
	s_load_dwordx4 s[12:15], s[4:5], 0x18
	s_load_dword s20, s[4:5], 0x28
	s_load_dword s21, s[4:5], 0x48
	s_add_u32 s4, s16, -1
	s_addc_u32 s5, s17, -1
	s_lshl_b64 s[16:17], s[0:1], 3
	s_mov_b64 s[8:9], 0
	s_waitcnt lgkmcnt(0)
	v_mov_b32_e32 v7, s13
	v_mov_b32_e32 v8, s17
	s_waitcnt vmcnt(0)
	v_subrev_co_u32_e32 v2, vcc, s21, v2
	v_subbrev_co_u32_e32 v3, vcc, 0, v3, vcc
	s_branch .LBB13_4
.LBB13_3:                               ;   in Loop: Header=BB13_4 Depth=1
	s_or_b64 exec, exec, s[18:19]
	s_cmp_eq_u64 s[4:5], 0
	s_cselect_b64 s[18:19], -1, 0
	s_or_b64 s[0:1], s[0:1], s[18:19]
	s_add_u32 s4, s4, -1
	s_addc_u32 s5, s5, -1
	s_and_b64 s[0:1], exec, s[0:1]
	v_add_co_u32_e32 v0, vcc, s16, v0
	s_or_b64 s[8:9], s[0:1], s[8:9]
	v_addc_co_u32_e32 v1, vcc, v1, v8, vcc
	s_andn2_b64 exec, exec, s[8:9]
	s_cbranch_execz .LBB13_6
.LBB13_4:                               ; =>This Inner Loop Header: Depth=1
	v_add_co_u32_e32 v4, vcc, s12, v0
	v_addc_co_u32_e32 v5, vcc, v7, v1, vcc
	global_load_dwordx2 v[4:5], v[4:5], off
	s_waitcnt vmcnt(0)
	v_subrev_co_u32_e32 v4, vcc, s20, v4
	v_subb_co_u32_e32 v5, vcc, v5, v6, vcc
	v_cmp_gt_i64_e32 vcc, 0, v[4:5]
	v_cmp_le_i64_e64 s[0:1], s[2:3], v[4:5]
	s_or_b64 s[0:1], vcc, s[0:1]
	s_xor_b64 s[24:25], s[0:1], -1
	s_and_saveexec_b64 s[18:19], s[24:25]
	s_cbranch_execz .LBB13_3
; %bb.5:                                ;   in Loop: Header=BB13_4 Depth=1
	v_mov_b32_e32 v9, s15
	v_add_co_u32_e32 v10, vcc, s14, v0
	v_addc_co_u32_e32 v11, vcc, v9, v1, vcc
	global_load_dwordx2 v[10:11], v[10:11], off
	v_add_co_u32_e32 v12, vcc, 1, v2
	v_addc_co_u32_e32 v13, vcc, 0, v3, vcc
	v_lshlrev_b64 v[2:3], 3, v[2:3]
	v_mov_b32_e32 v9, s7
	v_add_co_u32_e32 v14, vcc, s6, v2
	v_addc_co_u32_e32 v15, vcc, v9, v3, vcc
	v_mov_b32_e32 v16, s11
	v_add_co_u32_e32 v2, vcc, s10, v2
	v_addc_co_u32_e32 v3, vcc, v16, v3, vcc
	;; [unrolled: 3-line block ×3, first 2 shown]
	global_store_dwordx2 v[2:3], v[4:5], off
	s_waitcnt vmcnt(1)
	global_store_dwordx2 v[14:15], v[10:11], off
	v_pk_mov_b32 v[2:3], v[12:13], v[12:13] op_sel:[0,1]
	s_branch .LBB13_3
.LBB13_6:
	s_endpgm
	.section	.rodata,"a",@progbits
	.p2align	6, 0x0
	.amdhsa_kernel _ZN9rocsparseL12ell2csr_fillILj256E21rocsparse_complex_numIfEllEEvT2_S3_S3_PKS3_PKT0_21rocsparse_index_base_PKT1_PS3_PS6_S9_
		.amdhsa_group_segment_fixed_size 0
		.amdhsa_private_segment_fixed_size 0
		.amdhsa_kernarg_size 76
		.amdhsa_user_sgpr_count 6
		.amdhsa_user_sgpr_private_segment_buffer 1
		.amdhsa_user_sgpr_dispatch_ptr 0
		.amdhsa_user_sgpr_queue_ptr 0
		.amdhsa_user_sgpr_kernarg_segment_ptr 1
		.amdhsa_user_sgpr_dispatch_id 0
		.amdhsa_user_sgpr_flat_scratch_init 0
		.amdhsa_user_sgpr_kernarg_preload_length 0
		.amdhsa_user_sgpr_kernarg_preload_offset 0
		.amdhsa_user_sgpr_private_segment_size 0
		.amdhsa_uses_dynamic_stack 0
		.amdhsa_system_sgpr_private_segment_wavefront_offset 0
		.amdhsa_system_sgpr_workgroup_id_x 1
		.amdhsa_system_sgpr_workgroup_id_y 0
		.amdhsa_system_sgpr_workgroup_id_z 0
		.amdhsa_system_sgpr_workgroup_info 0
		.amdhsa_system_vgpr_workitem_id 0
		.amdhsa_next_free_vgpr 18
		.amdhsa_next_free_sgpr 26
		.amdhsa_accum_offset 20
		.amdhsa_reserve_vcc 1
		.amdhsa_reserve_flat_scratch 0
		.amdhsa_float_round_mode_32 0
		.amdhsa_float_round_mode_16_64 0
		.amdhsa_float_denorm_mode_32 3
		.amdhsa_float_denorm_mode_16_64 3
		.amdhsa_dx10_clamp 1
		.amdhsa_ieee_mode 1
		.amdhsa_fp16_overflow 0
		.amdhsa_tg_split 0
		.amdhsa_exception_fp_ieee_invalid_op 0
		.amdhsa_exception_fp_denorm_src 0
		.amdhsa_exception_fp_ieee_div_zero 0
		.amdhsa_exception_fp_ieee_overflow 0
		.amdhsa_exception_fp_ieee_underflow 0
		.amdhsa_exception_fp_ieee_inexact 0
		.amdhsa_exception_int_div_zero 0
	.end_amdhsa_kernel
	.section	.text._ZN9rocsparseL12ell2csr_fillILj256E21rocsparse_complex_numIfEllEEvT2_S3_S3_PKS3_PKT0_21rocsparse_index_base_PKT1_PS3_PS6_S9_,"axG",@progbits,_ZN9rocsparseL12ell2csr_fillILj256E21rocsparse_complex_numIfEllEEvT2_S3_S3_PKS3_PKT0_21rocsparse_index_base_PKT1_PS3_PS6_S9_,comdat
.Lfunc_end13:
	.size	_ZN9rocsparseL12ell2csr_fillILj256E21rocsparse_complex_numIfEllEEvT2_S3_S3_PKS3_PKT0_21rocsparse_index_base_PKT1_PS3_PS6_S9_, .Lfunc_end13-_ZN9rocsparseL12ell2csr_fillILj256E21rocsparse_complex_numIfEllEEvT2_S3_S3_PKS3_PKT0_21rocsparse_index_base_PKT1_PS3_PS6_S9_
                                        ; -- End function
	.section	.AMDGPU.csdata,"",@progbits
; Kernel info:
; codeLenInByte = 400
; NumSgprs: 30
; NumVgprs: 18
; NumAgprs: 0
; TotalNumVgprs: 18
; ScratchSize: 0
; MemoryBound: 0
; FloatMode: 240
; IeeeMode: 1
; LDSByteSize: 0 bytes/workgroup (compile time only)
; SGPRBlocks: 3
; VGPRBlocks: 2
; NumSGPRsForWavesPerEU: 30
; NumVGPRsForWavesPerEU: 18
; AccumOffset: 20
; Occupancy: 8
; WaveLimiterHint : 0
; COMPUTE_PGM_RSRC2:SCRATCH_EN: 0
; COMPUTE_PGM_RSRC2:USER_SGPR: 6
; COMPUTE_PGM_RSRC2:TRAP_HANDLER: 0
; COMPUTE_PGM_RSRC2:TGID_X_EN: 1
; COMPUTE_PGM_RSRC2:TGID_Y_EN: 0
; COMPUTE_PGM_RSRC2:TGID_Z_EN: 0
; COMPUTE_PGM_RSRC2:TIDIG_COMP_CNT: 0
; COMPUTE_PGM_RSRC3_GFX90A:ACCUM_OFFSET: 4
; COMPUTE_PGM_RSRC3_GFX90A:TG_SPLIT: 0
	.section	.text._ZN9rocsparseL12ell2csr_fillILj256EdllEEvT2_S1_S1_PKS1_PKT0_21rocsparse_index_base_PKT1_PS1_PS4_S7_,"axG",@progbits,_ZN9rocsparseL12ell2csr_fillILj256EdllEEvT2_S1_S1_PKS1_PKT0_21rocsparse_index_base_PKT1_PS1_PS4_S7_,comdat
	.globl	_ZN9rocsparseL12ell2csr_fillILj256EdllEEvT2_S1_S1_PKS1_PKT0_21rocsparse_index_base_PKT1_PS1_PS4_S7_ ; -- Begin function _ZN9rocsparseL12ell2csr_fillILj256EdllEEvT2_S1_S1_PKS1_PKT0_21rocsparse_index_base_PKT1_PS1_PS4_S7_
	.p2align	8
	.type	_ZN9rocsparseL12ell2csr_fillILj256EdllEEvT2_S1_S1_PKS1_PKT0_21rocsparse_index_base_PKT1_PS1_PS4_S7_,@function
_ZN9rocsparseL12ell2csr_fillILj256EdllEEvT2_S1_S1_PKS1_PKT0_21rocsparse_index_base_PKT1_PS1_PS4_S7_: ; @_ZN9rocsparseL12ell2csr_fillILj256EdllEEvT2_S1_S1_PKS1_PKT0_21rocsparse_index_base_PKT1_PS1_PS4_S7_
; %bb.0:
	s_load_dwordx4 s[0:3], s[4:5], 0x0
	v_lshl_or_b32 v0, s6, 8, v0
	v_mov_b32_e32 v1, 0
	s_waitcnt lgkmcnt(0)
	v_cmp_gt_i64_e32 vcc, s[0:1], v[0:1]
	s_and_saveexec_b64 s[6:7], vcc
	s_cbranch_execz .LBB14_6
; %bb.1:
	s_load_dwordx2 s[16:17], s[4:5], 0x10
	s_waitcnt lgkmcnt(0)
	v_cmp_lt_i64_e64 s[6:7], s[16:17], 1
	s_and_b64 vcc, exec, s[6:7]
	s_cbranch_vccnz .LBB14_6
; %bb.2:
	s_load_dwordx4 s[8:11], s[4:5], 0x30
	v_lshlrev_b64 v[0:1], 3, v[0:1]
	s_mov_b32 s22, 0
	v_mov_b32_e32 v6, s22
	s_waitcnt lgkmcnt(0)
	v_mov_b32_e32 v3, s9
	v_add_co_u32_e32 v2, vcc, s8, v0
	v_addc_co_u32_e32 v3, vcc, v3, v1, vcc
	global_load_dwordx2 v[2:3], v[2:3], off
	s_load_dwordx2 s[6:7], s[4:5], 0x40
	s_load_dwordx4 s[12:15], s[4:5], 0x18
	s_load_dword s20, s[4:5], 0x28
	s_load_dword s21, s[4:5], 0x48
	s_add_u32 s4, s16, -1
	s_addc_u32 s5, s17, -1
	s_lshl_b64 s[16:17], s[0:1], 3
	s_mov_b64 s[8:9], 0
	s_waitcnt lgkmcnt(0)
	v_mov_b32_e32 v7, s13
	v_mov_b32_e32 v8, s17
	s_waitcnt vmcnt(0)
	v_subrev_co_u32_e32 v2, vcc, s21, v2
	v_subbrev_co_u32_e32 v3, vcc, 0, v3, vcc
	s_branch .LBB14_4
.LBB14_3:                               ;   in Loop: Header=BB14_4 Depth=1
	s_or_b64 exec, exec, s[18:19]
	s_cmp_eq_u64 s[4:5], 0
	s_cselect_b64 s[18:19], -1, 0
	s_or_b64 s[0:1], s[0:1], s[18:19]
	s_add_u32 s4, s4, -1
	s_addc_u32 s5, s5, -1
	s_and_b64 s[0:1], exec, s[0:1]
	v_add_co_u32_e32 v0, vcc, s16, v0
	s_or_b64 s[8:9], s[0:1], s[8:9]
	v_addc_co_u32_e32 v1, vcc, v1, v8, vcc
	s_andn2_b64 exec, exec, s[8:9]
	s_cbranch_execz .LBB14_6
.LBB14_4:                               ; =>This Inner Loop Header: Depth=1
	v_add_co_u32_e32 v4, vcc, s12, v0
	v_addc_co_u32_e32 v5, vcc, v7, v1, vcc
	global_load_dwordx2 v[4:5], v[4:5], off
	s_waitcnt vmcnt(0)
	v_subrev_co_u32_e32 v4, vcc, s20, v4
	v_subb_co_u32_e32 v5, vcc, v5, v6, vcc
	v_cmp_gt_i64_e32 vcc, 0, v[4:5]
	v_cmp_le_i64_e64 s[0:1], s[2:3], v[4:5]
	s_or_b64 s[0:1], vcc, s[0:1]
	s_xor_b64 s[24:25], s[0:1], -1
	s_and_saveexec_b64 s[18:19], s[24:25]
	s_cbranch_execz .LBB14_3
; %bb.5:                                ;   in Loop: Header=BB14_4 Depth=1
	v_mov_b32_e32 v9, s15
	v_add_co_u32_e32 v10, vcc, s14, v0
	v_addc_co_u32_e32 v11, vcc, v9, v1, vcc
	global_load_dwordx2 v[10:11], v[10:11], off
	v_add_co_u32_e32 v12, vcc, 1, v2
	v_addc_co_u32_e32 v13, vcc, 0, v3, vcc
	v_lshlrev_b64 v[2:3], 3, v[2:3]
	v_mov_b32_e32 v9, s7
	v_add_co_u32_e32 v14, vcc, s6, v2
	v_addc_co_u32_e32 v15, vcc, v9, v3, vcc
	v_mov_b32_e32 v16, s11
	v_add_co_u32_e32 v2, vcc, s10, v2
	v_addc_co_u32_e32 v3, vcc, v16, v3, vcc
	;; [unrolled: 3-line block ×3, first 2 shown]
	global_store_dwordx2 v[2:3], v[4:5], off
	s_waitcnt vmcnt(1)
	global_store_dwordx2 v[14:15], v[10:11], off
	v_pk_mov_b32 v[2:3], v[12:13], v[12:13] op_sel:[0,1]
	s_branch .LBB14_3
.LBB14_6:
	s_endpgm
	.section	.rodata,"a",@progbits
	.p2align	6, 0x0
	.amdhsa_kernel _ZN9rocsparseL12ell2csr_fillILj256EdllEEvT2_S1_S1_PKS1_PKT0_21rocsparse_index_base_PKT1_PS1_PS4_S7_
		.amdhsa_group_segment_fixed_size 0
		.amdhsa_private_segment_fixed_size 0
		.amdhsa_kernarg_size 76
		.amdhsa_user_sgpr_count 6
		.amdhsa_user_sgpr_private_segment_buffer 1
		.amdhsa_user_sgpr_dispatch_ptr 0
		.amdhsa_user_sgpr_queue_ptr 0
		.amdhsa_user_sgpr_kernarg_segment_ptr 1
		.amdhsa_user_sgpr_dispatch_id 0
		.amdhsa_user_sgpr_flat_scratch_init 0
		.amdhsa_user_sgpr_kernarg_preload_length 0
		.amdhsa_user_sgpr_kernarg_preload_offset 0
		.amdhsa_user_sgpr_private_segment_size 0
		.amdhsa_uses_dynamic_stack 0
		.amdhsa_system_sgpr_private_segment_wavefront_offset 0
		.amdhsa_system_sgpr_workgroup_id_x 1
		.amdhsa_system_sgpr_workgroup_id_y 0
		.amdhsa_system_sgpr_workgroup_id_z 0
		.amdhsa_system_sgpr_workgroup_info 0
		.amdhsa_system_vgpr_workitem_id 0
		.amdhsa_next_free_vgpr 18
		.amdhsa_next_free_sgpr 26
		.amdhsa_accum_offset 20
		.amdhsa_reserve_vcc 1
		.amdhsa_reserve_flat_scratch 0
		.amdhsa_float_round_mode_32 0
		.amdhsa_float_round_mode_16_64 0
		.amdhsa_float_denorm_mode_32 3
		.amdhsa_float_denorm_mode_16_64 3
		.amdhsa_dx10_clamp 1
		.amdhsa_ieee_mode 1
		.amdhsa_fp16_overflow 0
		.amdhsa_tg_split 0
		.amdhsa_exception_fp_ieee_invalid_op 0
		.amdhsa_exception_fp_denorm_src 0
		.amdhsa_exception_fp_ieee_div_zero 0
		.amdhsa_exception_fp_ieee_overflow 0
		.amdhsa_exception_fp_ieee_underflow 0
		.amdhsa_exception_fp_ieee_inexact 0
		.amdhsa_exception_int_div_zero 0
	.end_amdhsa_kernel
	.section	.text._ZN9rocsparseL12ell2csr_fillILj256EdllEEvT2_S1_S1_PKS1_PKT0_21rocsparse_index_base_PKT1_PS1_PS4_S7_,"axG",@progbits,_ZN9rocsparseL12ell2csr_fillILj256EdllEEvT2_S1_S1_PKS1_PKT0_21rocsparse_index_base_PKT1_PS1_PS4_S7_,comdat
.Lfunc_end14:
	.size	_ZN9rocsparseL12ell2csr_fillILj256EdllEEvT2_S1_S1_PKS1_PKT0_21rocsparse_index_base_PKT1_PS1_PS4_S7_, .Lfunc_end14-_ZN9rocsparseL12ell2csr_fillILj256EdllEEvT2_S1_S1_PKS1_PKT0_21rocsparse_index_base_PKT1_PS1_PS4_S7_
                                        ; -- End function
	.section	.AMDGPU.csdata,"",@progbits
; Kernel info:
; codeLenInByte = 400
; NumSgprs: 30
; NumVgprs: 18
; NumAgprs: 0
; TotalNumVgprs: 18
; ScratchSize: 0
; MemoryBound: 0
; FloatMode: 240
; IeeeMode: 1
; LDSByteSize: 0 bytes/workgroup (compile time only)
; SGPRBlocks: 3
; VGPRBlocks: 2
; NumSGPRsForWavesPerEU: 30
; NumVGPRsForWavesPerEU: 18
; AccumOffset: 20
; Occupancy: 8
; WaveLimiterHint : 0
; COMPUTE_PGM_RSRC2:SCRATCH_EN: 0
; COMPUTE_PGM_RSRC2:USER_SGPR: 6
; COMPUTE_PGM_RSRC2:TRAP_HANDLER: 0
; COMPUTE_PGM_RSRC2:TGID_X_EN: 1
; COMPUTE_PGM_RSRC2:TGID_Y_EN: 0
; COMPUTE_PGM_RSRC2:TGID_Z_EN: 0
; COMPUTE_PGM_RSRC2:TIDIG_COMP_CNT: 0
; COMPUTE_PGM_RSRC3_GFX90A:ACCUM_OFFSET: 4
; COMPUTE_PGM_RSRC3_GFX90A:TG_SPLIT: 0
	.section	.text._ZN9rocsparseL12ell2csr_fillILj256E21rocsparse_complex_numIdEllEEvT2_S3_S3_PKS3_PKT0_21rocsparse_index_base_PKT1_PS3_PS6_S9_,"axG",@progbits,_ZN9rocsparseL12ell2csr_fillILj256E21rocsparse_complex_numIdEllEEvT2_S3_S3_PKS3_PKT0_21rocsparse_index_base_PKT1_PS3_PS6_S9_,comdat
	.globl	_ZN9rocsparseL12ell2csr_fillILj256E21rocsparse_complex_numIdEllEEvT2_S3_S3_PKS3_PKT0_21rocsparse_index_base_PKT1_PS3_PS6_S9_ ; -- Begin function _ZN9rocsparseL12ell2csr_fillILj256E21rocsparse_complex_numIdEllEEvT2_S3_S3_PKS3_PKT0_21rocsparse_index_base_PKT1_PS3_PS6_S9_
	.p2align	8
	.type	_ZN9rocsparseL12ell2csr_fillILj256E21rocsparse_complex_numIdEllEEvT2_S3_S3_PKS3_PKT0_21rocsparse_index_base_PKT1_PS3_PS6_S9_,@function
_ZN9rocsparseL12ell2csr_fillILj256E21rocsparse_complex_numIdEllEEvT2_S3_S3_PKS3_PKT0_21rocsparse_index_base_PKT1_PS3_PS6_S9_: ; @_ZN9rocsparseL12ell2csr_fillILj256E21rocsparse_complex_numIdEllEEvT2_S3_S3_PKS3_PKT0_21rocsparse_index_base_PKT1_PS3_PS6_S9_
; %bb.0:
	s_load_dwordx4 s[0:3], s[4:5], 0x0
	v_lshl_or_b32 v0, s6, 8, v0
	v_mov_b32_e32 v1, 0
	s_waitcnt lgkmcnt(0)
	v_cmp_gt_i64_e32 vcc, s[0:1], v[0:1]
	s_and_saveexec_b64 s[6:7], vcc
	s_cbranch_execz .LBB15_6
; %bb.1:
	s_load_dwordx2 s[12:13], s[4:5], 0x10
	s_waitcnt lgkmcnt(0)
	v_cmp_lt_i64_e64 s[6:7], s[12:13], 1
	s_and_b64 vcc, exec, s[6:7]
	s_cbranch_vccnz .LBB15_6
; %bb.2:
	s_load_dwordx4 s[8:11], s[4:5], 0x30
	v_lshlrev_b64 v[2:3], 3, v[0:1]
	v_lshlrev_b64 v[6:7], 4, v[0:1]
	s_mov_b32 s20, 0
	v_mov_b32_e32 v8, s20
	s_waitcnt lgkmcnt(0)
	v_mov_b32_e32 v5, s9
	v_add_co_u32_e32 v4, vcc, s8, v2
	v_addc_co_u32_e32 v5, vcc, v5, v3, vcc
	global_load_dwordx2 v[4:5], v[4:5], off
	s_load_dwordx2 s[6:7], s[4:5], 0x40
	s_load_dwordx4 s[24:27], s[4:5], 0x18
	s_load_dword s18, s[4:5], 0x28
	s_load_dword s19, s[4:5], 0x48
	s_add_u32 s4, s12, -1
	s_addc_u32 s5, s13, -1
	s_waitcnt lgkmcnt(0)
	v_mov_b32_e32 v1, s25
	v_add_co_u32_e32 v0, vcc, s24, v2
	v_addc_co_u32_e32 v1, vcc, v1, v3, vcc
	v_mov_b32_e32 v10, s27
	v_add_co_u32_e32 v2, vcc, s26, v6
	v_addc_co_u32_e32 v3, vcc, v10, v7, vcc
	s_lshl_b64 s[12:13], s[0:1], 3
	s_lshl_b64 s[14:15], s[0:1], 4
	s_mov_b64 s[8:9], 0
	v_mov_b32_e32 v9, s13
	v_mov_b32_e32 v10, s15
	s_waitcnt vmcnt(0)
	v_subrev_co_u32_e32 v4, vcc, s19, v4
	v_subbrev_co_u32_e32 v5, vcc, 0, v5, vcc
	s_branch .LBB15_4
.LBB15_3:                               ;   in Loop: Header=BB15_4 Depth=1
	s_or_b64 exec, exec, s[16:17]
	s_cmp_eq_u64 s[4:5], 0
	s_cselect_b64 s[16:17], -1, 0
	s_or_b64 s[0:1], s[0:1], s[16:17]
	s_add_u32 s4, s4, -1
	v_add_co_u32_e32 v0, vcc, s12, v0
	s_addc_u32 s5, s5, -1
	v_addc_co_u32_e32 v1, vcc, v1, v9, vcc
	s_and_b64 s[0:1], exec, s[0:1]
	v_add_co_u32_e32 v2, vcc, s14, v2
	s_or_b64 s[8:9], s[0:1], s[8:9]
	v_addc_co_u32_e32 v3, vcc, v3, v10, vcc
	s_andn2_b64 exec, exec, s[8:9]
	s_cbranch_execz .LBB15_6
.LBB15_4:                               ; =>This Inner Loop Header: Depth=1
	global_load_dwordx2 v[6:7], v[0:1], off
	s_waitcnt vmcnt(0)
	v_subrev_co_u32_e32 v6, vcc, s18, v6
	v_subb_co_u32_e32 v7, vcc, v7, v8, vcc
	v_cmp_gt_i64_e32 vcc, 0, v[6:7]
	v_cmp_le_i64_e64 s[0:1], s[2:3], v[6:7]
	s_or_b64 s[0:1], vcc, s[0:1]
	s_xor_b64 s[22:23], s[0:1], -1
	s_and_saveexec_b64 s[16:17], s[22:23]
	s_cbranch_execz .LBB15_3
; %bb.5:                                ;   in Loop: Header=BB15_4 Depth=1
	global_load_dwordx4 v[12:15], v[2:3], off
	v_add_co_u32_e32 v16, vcc, 1, v4
	v_addc_co_u32_e32 v17, vcc, 0, v5, vcc
	v_lshlrev_b64 v[18:19], 4, v[4:5]
	v_mov_b32_e32 v11, s7
	v_add_co_u32_e32 v18, vcc, s6, v18
	v_lshlrev_b64 v[4:5], 3, v[4:5]
	v_addc_co_u32_e32 v19, vcc, v11, v19, vcc
	v_mov_b32_e32 v20, s11
	v_add_co_u32_e32 v4, vcc, s10, v4
	v_addc_co_u32_e32 v5, vcc, v20, v5, vcc
	v_mov_b32_e32 v21, s20
	v_add_co_u32_e32 v6, vcc, s19, v6
	v_addc_co_u32_e32 v7, vcc, v7, v21, vcc
	global_store_dwordx2 v[4:5], v[6:7], off
	s_waitcnt vmcnt(1)
	global_store_dwordx4 v[18:19], v[12:15], off
	v_pk_mov_b32 v[4:5], v[16:17], v[16:17] op_sel:[0,1]
	s_branch .LBB15_3
.LBB15_6:
	s_endpgm
	.section	.rodata,"a",@progbits
	.p2align	6, 0x0
	.amdhsa_kernel _ZN9rocsparseL12ell2csr_fillILj256E21rocsparse_complex_numIdEllEEvT2_S3_S3_PKS3_PKT0_21rocsparse_index_base_PKT1_PS3_PS6_S9_
		.amdhsa_group_segment_fixed_size 0
		.amdhsa_private_segment_fixed_size 0
		.amdhsa_kernarg_size 76
		.amdhsa_user_sgpr_count 6
		.amdhsa_user_sgpr_private_segment_buffer 1
		.amdhsa_user_sgpr_dispatch_ptr 0
		.amdhsa_user_sgpr_queue_ptr 0
		.amdhsa_user_sgpr_kernarg_segment_ptr 1
		.amdhsa_user_sgpr_dispatch_id 0
		.amdhsa_user_sgpr_flat_scratch_init 0
		.amdhsa_user_sgpr_kernarg_preload_length 0
		.amdhsa_user_sgpr_kernarg_preload_offset 0
		.amdhsa_user_sgpr_private_segment_size 0
		.amdhsa_uses_dynamic_stack 0
		.amdhsa_system_sgpr_private_segment_wavefront_offset 0
		.amdhsa_system_sgpr_workgroup_id_x 1
		.amdhsa_system_sgpr_workgroup_id_y 0
		.amdhsa_system_sgpr_workgroup_id_z 0
		.amdhsa_system_sgpr_workgroup_info 0
		.amdhsa_system_vgpr_workitem_id 0
		.amdhsa_next_free_vgpr 22
		.amdhsa_next_free_sgpr 28
		.amdhsa_accum_offset 24
		.amdhsa_reserve_vcc 1
		.amdhsa_reserve_flat_scratch 0
		.amdhsa_float_round_mode_32 0
		.amdhsa_float_round_mode_16_64 0
		.amdhsa_float_denorm_mode_32 3
		.amdhsa_float_denorm_mode_16_64 3
		.amdhsa_dx10_clamp 1
		.amdhsa_ieee_mode 1
		.amdhsa_fp16_overflow 0
		.amdhsa_tg_split 0
		.amdhsa_exception_fp_ieee_invalid_op 0
		.amdhsa_exception_fp_denorm_src 0
		.amdhsa_exception_fp_ieee_div_zero 0
		.amdhsa_exception_fp_ieee_overflow 0
		.amdhsa_exception_fp_ieee_underflow 0
		.amdhsa_exception_fp_ieee_inexact 0
		.amdhsa_exception_int_div_zero 0
	.end_amdhsa_kernel
	.section	.text._ZN9rocsparseL12ell2csr_fillILj256E21rocsparse_complex_numIdEllEEvT2_S3_S3_PKS3_PKT0_21rocsparse_index_base_PKT1_PS3_PS6_S9_,"axG",@progbits,_ZN9rocsparseL12ell2csr_fillILj256E21rocsparse_complex_numIdEllEEvT2_S3_S3_PKS3_PKT0_21rocsparse_index_base_PKT1_PS3_PS6_S9_,comdat
.Lfunc_end15:
	.size	_ZN9rocsparseL12ell2csr_fillILj256E21rocsparse_complex_numIdEllEEvT2_S3_S3_PKS3_PKT0_21rocsparse_index_base_PKT1_PS3_PS6_S9_, .Lfunc_end15-_ZN9rocsparseL12ell2csr_fillILj256E21rocsparse_complex_numIdEllEEvT2_S3_S3_PKS3_PKT0_21rocsparse_index_base_PKT1_PS3_PS6_S9_
                                        ; -- End function
	.section	.AMDGPU.csdata,"",@progbits
; Kernel info:
; codeLenInByte = 432
; NumSgprs: 32
; NumVgprs: 22
; NumAgprs: 0
; TotalNumVgprs: 22
; ScratchSize: 0
; MemoryBound: 0
; FloatMode: 240
; IeeeMode: 1
; LDSByteSize: 0 bytes/workgroup (compile time only)
; SGPRBlocks: 3
; VGPRBlocks: 2
; NumSGPRsForWavesPerEU: 32
; NumVGPRsForWavesPerEU: 22
; AccumOffset: 24
; Occupancy: 8
; WaveLimiterHint : 0
; COMPUTE_PGM_RSRC2:SCRATCH_EN: 0
; COMPUTE_PGM_RSRC2:USER_SGPR: 6
; COMPUTE_PGM_RSRC2:TRAP_HANDLER: 0
; COMPUTE_PGM_RSRC2:TGID_X_EN: 1
; COMPUTE_PGM_RSRC2:TGID_Y_EN: 0
; COMPUTE_PGM_RSRC2:TGID_Z_EN: 0
; COMPUTE_PGM_RSRC2:TIDIG_COMP_CNT: 0
; COMPUTE_PGM_RSRC3_GFX90A:ACCUM_OFFSET: 5
; COMPUTE_PGM_RSRC3_GFX90A:TG_SPLIT: 0
	.section	.text._ZN9rocsparseL19ell2csr_nnz_per_rowILj256EiiEEvT1_S1_S1_PKS1_21rocsparse_index_base_PT0_S4_,"axG",@progbits,_ZN9rocsparseL19ell2csr_nnz_per_rowILj256EiiEEvT1_S1_S1_PKS1_21rocsparse_index_base_PT0_S4_,comdat
	.globl	_ZN9rocsparseL19ell2csr_nnz_per_rowILj256EiiEEvT1_S1_S1_PKS1_21rocsparse_index_base_PT0_S4_ ; -- Begin function _ZN9rocsparseL19ell2csr_nnz_per_rowILj256EiiEEvT1_S1_S1_PKS1_21rocsparse_index_base_PT0_S4_
	.p2align	8
	.type	_ZN9rocsparseL19ell2csr_nnz_per_rowILj256EiiEEvT1_S1_S1_PKS1_21rocsparse_index_base_PT0_S4_,@function
_ZN9rocsparseL19ell2csr_nnz_per_rowILj256EiiEEvT1_S1_S1_PKS1_21rocsparse_index_base_PT0_S4_: ; @_ZN9rocsparseL19ell2csr_nnz_per_rowILj256EiiEEvT1_S1_S1_PKS1_21rocsparse_index_base_PT0_S4_
; %bb.0:
	s_load_dwordx4 s[8:11], s[4:5], 0x0
	v_lshl_or_b32 v0, s6, 8, v0
	s_waitcnt lgkmcnt(0)
	v_cmp_gt_i32_e32 vcc, s8, v0
	s_and_saveexec_b64 s[0:1], vcc
	s_cbranch_execz .LBB16_11
; %bb.1:
	s_load_dwordx2 s[2:3], s[4:5], 0x20
	v_cmp_eq_u32_e32 vcc, 0, v0
	s_and_saveexec_b64 s[0:1], vcc
	s_cbranch_execz .LBB16_3
; %bb.2:
	s_load_dword s6, s[4:5], 0x28
	v_mov_b32_e32 v1, 0
	s_waitcnt lgkmcnt(0)
	v_mov_b32_e32 v2, s6
	global_store_dword v1, v2, s[2:3]
.LBB16_3:
	s_or_b64 exec, exec, s[0:1]
	s_cmp_lt_i32 s10, 1
	s_cbranch_scc1 .LBB16_9
; %bb.4:
	s_load_dwordx2 s[6:7], s[4:5], 0x10
	s_load_dword s11, s[4:5], 0x18
	s_mov_b32 s14, 0
	s_mov_b64 s[4:5], 0
	v_mov_b32_e32 v2, v0
	s_waitcnt lgkmcnt(0)
	v_mov_b32_e32 v1, s7
                                        ; implicit-def: $sgpr12_sgpr13
	s_branch .LBB16_6
.LBB16_5:                               ;   in Loop: Header=BB16_6 Depth=1
	s_or_b64 exec, exec, s[0:1]
	s_and_b64 s[0:1], exec, s[12:13]
	s_or_b64 s[4:5], s[0:1], s[4:5]
	s_andn2_b64 exec, exec, s[4:5]
	s_cbranch_execz .LBB16_8
.LBB16_6:                               ; =>This Inner Loop Header: Depth=1
	v_ashrrev_i32_e32 v3, 31, v2
	v_lshlrev_b64 v[4:5], 2, v[2:3]
	v_add_co_u32_e32 v4, vcc, s6, v4
	v_addc_co_u32_e32 v5, vcc, v1, v5, vcc
	global_load_dword v4, v[4:5], off
	v_mov_b32_e32 v3, s14
	s_or_b64 s[12:13], s[12:13], exec
	s_waitcnt vmcnt(0)
	v_subrev_u32_e32 v4, s11, v4
	v_cmp_lt_i32_e32 vcc, -1, v4
	v_cmp_gt_i32_e64 s[0:1], s9, v4
	s_and_b64 s[16:17], vcc, s[0:1]
	s_and_saveexec_b64 s[0:1], s[16:17]
	s_cbranch_execz .LBB16_5
; %bb.7:                                ;   in Loop: Header=BB16_6 Depth=1
	s_add_i32 s14, s14, 1
	s_cmp_eq_u32 s10, s14
	s_cselect_b64 s[16:17], -1, 0
	s_andn2_b64 s[12:13], s[12:13], exec
	s_and_b64 s[16:17], s[16:17], exec
	v_add_u32_e32 v2, s8, v2
	v_mov_b32_e32 v3, s10
	s_or_b64 s[12:13], s[12:13], s[16:17]
	s_branch .LBB16_5
.LBB16_8:
	s_or_b64 exec, exec, s[4:5]
	s_branch .LBB16_10
.LBB16_9:
	v_mov_b32_e32 v3, 0
.LBB16_10:
	v_ashrrev_i32_e32 v1, 31, v0
	v_lshlrev_b64 v[0:1], 2, v[0:1]
	s_waitcnt lgkmcnt(0)
	v_mov_b32_e32 v2, s3
	v_add_co_u32_e32 v0, vcc, s2, v0
	v_addc_co_u32_e32 v1, vcc, v2, v1, vcc
	global_store_dword v[0:1], v3, off offset:4
.LBB16_11:
	s_endpgm
	.section	.rodata,"a",@progbits
	.p2align	6, 0x0
	.amdhsa_kernel _ZN9rocsparseL19ell2csr_nnz_per_rowILj256EiiEEvT1_S1_S1_PKS1_21rocsparse_index_base_PT0_S4_
		.amdhsa_group_segment_fixed_size 0
		.amdhsa_private_segment_fixed_size 0
		.amdhsa_kernarg_size 44
		.amdhsa_user_sgpr_count 6
		.amdhsa_user_sgpr_private_segment_buffer 1
		.amdhsa_user_sgpr_dispatch_ptr 0
		.amdhsa_user_sgpr_queue_ptr 0
		.amdhsa_user_sgpr_kernarg_segment_ptr 1
		.amdhsa_user_sgpr_dispatch_id 0
		.amdhsa_user_sgpr_flat_scratch_init 0
		.amdhsa_user_sgpr_kernarg_preload_length 0
		.amdhsa_user_sgpr_kernarg_preload_offset 0
		.amdhsa_user_sgpr_private_segment_size 0
		.amdhsa_uses_dynamic_stack 0
		.amdhsa_system_sgpr_private_segment_wavefront_offset 0
		.amdhsa_system_sgpr_workgroup_id_x 1
		.amdhsa_system_sgpr_workgroup_id_y 0
		.amdhsa_system_sgpr_workgroup_id_z 0
		.amdhsa_system_sgpr_workgroup_info 0
		.amdhsa_system_vgpr_workitem_id 0
		.amdhsa_next_free_vgpr 6
		.amdhsa_next_free_sgpr 18
		.amdhsa_accum_offset 8
		.amdhsa_reserve_vcc 1
		.amdhsa_reserve_flat_scratch 0
		.amdhsa_float_round_mode_32 0
		.amdhsa_float_round_mode_16_64 0
		.amdhsa_float_denorm_mode_32 3
		.amdhsa_float_denorm_mode_16_64 3
		.amdhsa_dx10_clamp 1
		.amdhsa_ieee_mode 1
		.amdhsa_fp16_overflow 0
		.amdhsa_tg_split 0
		.amdhsa_exception_fp_ieee_invalid_op 0
		.amdhsa_exception_fp_denorm_src 0
		.amdhsa_exception_fp_ieee_div_zero 0
		.amdhsa_exception_fp_ieee_overflow 0
		.amdhsa_exception_fp_ieee_underflow 0
		.amdhsa_exception_fp_ieee_inexact 0
		.amdhsa_exception_int_div_zero 0
	.end_amdhsa_kernel
	.section	.text._ZN9rocsparseL19ell2csr_nnz_per_rowILj256EiiEEvT1_S1_S1_PKS1_21rocsparse_index_base_PT0_S4_,"axG",@progbits,_ZN9rocsparseL19ell2csr_nnz_per_rowILj256EiiEEvT1_S1_S1_PKS1_21rocsparse_index_base_PT0_S4_,comdat
.Lfunc_end16:
	.size	_ZN9rocsparseL19ell2csr_nnz_per_rowILj256EiiEEvT1_S1_S1_PKS1_21rocsparse_index_base_PT0_S4_, .Lfunc_end16-_ZN9rocsparseL19ell2csr_nnz_per_rowILj256EiiEEvT1_S1_S1_PKS1_21rocsparse_index_base_PT0_S4_
                                        ; -- End function
	.section	.AMDGPU.csdata,"",@progbits
; Kernel info:
; codeLenInByte = 308
; NumSgprs: 22
; NumVgprs: 6
; NumAgprs: 0
; TotalNumVgprs: 6
; ScratchSize: 0
; MemoryBound: 0
; FloatMode: 240
; IeeeMode: 1
; LDSByteSize: 0 bytes/workgroup (compile time only)
; SGPRBlocks: 2
; VGPRBlocks: 0
; NumSGPRsForWavesPerEU: 22
; NumVGPRsForWavesPerEU: 6
; AccumOffset: 8
; Occupancy: 8
; WaveLimiterHint : 0
; COMPUTE_PGM_RSRC2:SCRATCH_EN: 0
; COMPUTE_PGM_RSRC2:USER_SGPR: 6
; COMPUTE_PGM_RSRC2:TRAP_HANDLER: 0
; COMPUTE_PGM_RSRC2:TGID_X_EN: 1
; COMPUTE_PGM_RSRC2:TGID_Y_EN: 0
; COMPUTE_PGM_RSRC2:TGID_Z_EN: 0
; COMPUTE_PGM_RSRC2:TIDIG_COMP_CNT: 0
; COMPUTE_PGM_RSRC3_GFX90A:ACCUM_OFFSET: 1
; COMPUTE_PGM_RSRC3_GFX90A:TG_SPLIT: 0
	.section	.text._ZN9rocsparseL18ell2csr_index_baseILj1EiEEvPT0_,"axG",@progbits,_ZN9rocsparseL18ell2csr_index_baseILj1EiEEvPT0_,comdat
	.globl	_ZN9rocsparseL18ell2csr_index_baseILj1EiEEvPT0_ ; -- Begin function _ZN9rocsparseL18ell2csr_index_baseILj1EiEEvPT0_
	.p2align	8
	.type	_ZN9rocsparseL18ell2csr_index_baseILj1EiEEvPT0_,@function
_ZN9rocsparseL18ell2csr_index_baseILj1EiEEvPT0_: ; @_ZN9rocsparseL18ell2csr_index_baseILj1EiEEvPT0_
; %bb.0:
	s_load_dwordx2 s[0:1], s[4:5], 0x0
	v_mov_b32_e32 v0, 0
	s_waitcnt lgkmcnt(0)
	s_load_dword s2, s[0:1], 0x0
	s_waitcnt lgkmcnt(0)
	s_add_i32 s2, s2, -1
	v_mov_b32_e32 v1, s2
	global_store_dword v0, v1, s[0:1]
	s_endpgm
	.section	.rodata,"a",@progbits
	.p2align	6, 0x0
	.amdhsa_kernel _ZN9rocsparseL18ell2csr_index_baseILj1EiEEvPT0_
		.amdhsa_group_segment_fixed_size 0
		.amdhsa_private_segment_fixed_size 0
		.amdhsa_kernarg_size 8
		.amdhsa_user_sgpr_count 6
		.amdhsa_user_sgpr_private_segment_buffer 1
		.amdhsa_user_sgpr_dispatch_ptr 0
		.amdhsa_user_sgpr_queue_ptr 0
		.amdhsa_user_sgpr_kernarg_segment_ptr 1
		.amdhsa_user_sgpr_dispatch_id 0
		.amdhsa_user_sgpr_flat_scratch_init 0
		.amdhsa_user_sgpr_kernarg_preload_length 0
		.amdhsa_user_sgpr_kernarg_preload_offset 0
		.amdhsa_user_sgpr_private_segment_size 0
		.amdhsa_uses_dynamic_stack 0
		.amdhsa_system_sgpr_private_segment_wavefront_offset 0
		.amdhsa_system_sgpr_workgroup_id_x 1
		.amdhsa_system_sgpr_workgroup_id_y 0
		.amdhsa_system_sgpr_workgroup_id_z 0
		.amdhsa_system_sgpr_workgroup_info 0
		.amdhsa_system_vgpr_workitem_id 0
		.amdhsa_next_free_vgpr 2
		.amdhsa_next_free_sgpr 6
		.amdhsa_accum_offset 4
		.amdhsa_reserve_vcc 0
		.amdhsa_reserve_flat_scratch 0
		.amdhsa_float_round_mode_32 0
		.amdhsa_float_round_mode_16_64 0
		.amdhsa_float_denorm_mode_32 3
		.amdhsa_float_denorm_mode_16_64 3
		.amdhsa_dx10_clamp 1
		.amdhsa_ieee_mode 1
		.amdhsa_fp16_overflow 0
		.amdhsa_tg_split 0
		.amdhsa_exception_fp_ieee_invalid_op 0
		.amdhsa_exception_fp_denorm_src 0
		.amdhsa_exception_fp_ieee_div_zero 0
		.amdhsa_exception_fp_ieee_overflow 0
		.amdhsa_exception_fp_ieee_underflow 0
		.amdhsa_exception_fp_ieee_inexact 0
		.amdhsa_exception_int_div_zero 0
	.end_amdhsa_kernel
	.section	.text._ZN9rocsparseL18ell2csr_index_baseILj1EiEEvPT0_,"axG",@progbits,_ZN9rocsparseL18ell2csr_index_baseILj1EiEEvPT0_,comdat
.Lfunc_end17:
	.size	_ZN9rocsparseL18ell2csr_index_baseILj1EiEEvPT0_, .Lfunc_end17-_ZN9rocsparseL18ell2csr_index_baseILj1EiEEvPT0_
                                        ; -- End function
	.section	.AMDGPU.csdata,"",@progbits
; Kernel info:
; codeLenInByte = 48
; NumSgprs: 10
; NumVgprs: 2
; NumAgprs: 0
; TotalNumVgprs: 2
; ScratchSize: 0
; MemoryBound: 0
; FloatMode: 240
; IeeeMode: 1
; LDSByteSize: 0 bytes/workgroup (compile time only)
; SGPRBlocks: 1
; VGPRBlocks: 0
; NumSGPRsForWavesPerEU: 10
; NumVGPRsForWavesPerEU: 2
; AccumOffset: 4
; Occupancy: 8
; WaveLimiterHint : 0
; COMPUTE_PGM_RSRC2:SCRATCH_EN: 0
; COMPUTE_PGM_RSRC2:USER_SGPR: 6
; COMPUTE_PGM_RSRC2:TRAP_HANDLER: 0
; COMPUTE_PGM_RSRC2:TGID_X_EN: 1
; COMPUTE_PGM_RSRC2:TGID_Y_EN: 0
; COMPUTE_PGM_RSRC2:TGID_Z_EN: 0
; COMPUTE_PGM_RSRC2:TIDIG_COMP_CNT: 0
; COMPUTE_PGM_RSRC3_GFX90A:ACCUM_OFFSET: 0
; COMPUTE_PGM_RSRC3_GFX90A:TG_SPLIT: 0
	.section	.text._ZN9rocsparseL19ell2csr_nnz_per_rowILj256EliEEvT1_S1_S1_PKS1_21rocsparse_index_base_PT0_S4_,"axG",@progbits,_ZN9rocsparseL19ell2csr_nnz_per_rowILj256EliEEvT1_S1_S1_PKS1_21rocsparse_index_base_PT0_S4_,comdat
	.globl	_ZN9rocsparseL19ell2csr_nnz_per_rowILj256EliEEvT1_S1_S1_PKS1_21rocsparse_index_base_PT0_S4_ ; -- Begin function _ZN9rocsparseL19ell2csr_nnz_per_rowILj256EliEEvT1_S1_S1_PKS1_21rocsparse_index_base_PT0_S4_
	.p2align	8
	.type	_ZN9rocsparseL19ell2csr_nnz_per_rowILj256EliEEvT1_S1_S1_PKS1_21rocsparse_index_base_PT0_S4_,@function
_ZN9rocsparseL19ell2csr_nnz_per_rowILj256EliEEvT1_S1_S1_PKS1_21rocsparse_index_base_PT0_S4_: ; @_ZN9rocsparseL19ell2csr_nnz_per_rowILj256EliEEvT1_S1_S1_PKS1_21rocsparse_index_base_PT0_S4_
; %bb.0:
	s_load_dwordx4 s[8:11], s[4:5], 0x0
	v_lshl_or_b32 v0, s6, 8, v0
	s_waitcnt lgkmcnt(0)
	v_cmp_gt_i32_e32 vcc, s8, v0
	s_and_saveexec_b64 s[0:1], vcc
	s_cbranch_execz .LBB18_11
; %bb.1:
	s_load_dwordx2 s[2:3], s[4:5], 0x20
	v_cmp_eq_u32_e32 vcc, 0, v0
	s_and_saveexec_b64 s[0:1], vcc
	s_cbranch_execz .LBB18_3
; %bb.2:
	s_load_dword s6, s[4:5], 0x28
	v_mov_b32_e32 v3, 0
	s_waitcnt lgkmcnt(0)
	v_mov_b32_e32 v2, s6
	global_store_dwordx2 v3, v[2:3], s[2:3]
.LBB18_3:
	s_or_b64 exec, exec, s[0:1]
	s_cmp_lt_i32 s10, 1
	s_cbranch_scc1 .LBB18_9
; %bb.4:
	s_load_dwordx2 s[6:7], s[4:5], 0x10
	s_load_dword s16, s[4:5], 0x18
	s_mov_b32 s11, 0
	s_mov_b64 s[4:5], 0
	v_mov_b32_e32 v2, v0
	s_waitcnt lgkmcnt(0)
	v_mov_b32_e32 v1, s7
	s_mov_b64 s[14:15], 0
                                        ; implicit-def: $sgpr12_sgpr13
	s_branch .LBB18_6
.LBB18_5:                               ;   in Loop: Header=BB18_6 Depth=1
	s_or_b64 exec, exec, s[0:1]
	s_and_b64 s[0:1], exec, s[12:13]
	s_or_b64 s[4:5], s[0:1], s[4:5]
	s_andn2_b64 exec, exec, s[4:5]
	s_cbranch_execz .LBB18_8
.LBB18_6:                               ; =>This Inner Loop Header: Depth=1
	v_ashrrev_i32_e32 v3, 31, v2
	v_lshlrev_b64 v[4:5], 2, v[2:3]
	v_add_co_u32_e32 v4, vcc, s6, v4
	v_addc_co_u32_e32 v5, vcc, v1, v5, vcc
	global_load_dword v3, v[4:5], off
	v_pk_mov_b32 v[4:5], s[14:15], s[14:15] op_sel:[0,1]
	s_or_b64 s[12:13], s[12:13], exec
	s_waitcnt vmcnt(0)
	v_subrev_u32_e32 v3, s16, v3
	v_cmp_lt_i32_e32 vcc, -1, v3
	v_cmp_gt_i32_e64 s[0:1], s9, v3
	s_and_b64 s[18:19], vcc, s[0:1]
	s_and_saveexec_b64 s[0:1], s[18:19]
	s_cbranch_execz .LBB18_5
; %bb.7:                                ;   in Loop: Header=BB18_6 Depth=1
	s_add_u32 s14, s14, 1
	s_addc_u32 s15, s15, 0
	s_cmp_eq_u64 s[10:11], s[14:15]
	s_cselect_b64 s[18:19], -1, 0
	s_andn2_b64 s[12:13], s[12:13], exec
	s_and_b64 s[18:19], s[18:19], exec
	v_add_u32_e32 v2, s8, v2
	v_pk_mov_b32 v[4:5], s[10:11], s[10:11] op_sel:[0,1]
	s_or_b64 s[12:13], s[12:13], s[18:19]
	s_branch .LBB18_5
.LBB18_8:
	s_or_b64 exec, exec, s[4:5]
	s_branch .LBB18_10
.LBB18_9:
	v_pk_mov_b32 v[4:5], 0, 0
.LBB18_10:
	v_ashrrev_i32_e32 v1, 31, v0
	v_lshlrev_b64 v[0:1], 3, v[0:1]
	s_waitcnt lgkmcnt(0)
	v_mov_b32_e32 v2, s3
	v_add_co_u32_e32 v0, vcc, s2, v0
	v_addc_co_u32_e32 v1, vcc, v2, v1, vcc
	global_store_dwordx2 v[0:1], v[4:5], off offset:8
.LBB18_11:
	s_endpgm
	.section	.rodata,"a",@progbits
	.p2align	6, 0x0
	.amdhsa_kernel _ZN9rocsparseL19ell2csr_nnz_per_rowILj256EliEEvT1_S1_S1_PKS1_21rocsparse_index_base_PT0_S4_
		.amdhsa_group_segment_fixed_size 0
		.amdhsa_private_segment_fixed_size 0
		.amdhsa_kernarg_size 44
		.amdhsa_user_sgpr_count 6
		.amdhsa_user_sgpr_private_segment_buffer 1
		.amdhsa_user_sgpr_dispatch_ptr 0
		.amdhsa_user_sgpr_queue_ptr 0
		.amdhsa_user_sgpr_kernarg_segment_ptr 1
		.amdhsa_user_sgpr_dispatch_id 0
		.amdhsa_user_sgpr_flat_scratch_init 0
		.amdhsa_user_sgpr_kernarg_preload_length 0
		.amdhsa_user_sgpr_kernarg_preload_offset 0
		.amdhsa_user_sgpr_private_segment_size 0
		.amdhsa_uses_dynamic_stack 0
		.amdhsa_system_sgpr_private_segment_wavefront_offset 0
		.amdhsa_system_sgpr_workgroup_id_x 1
		.amdhsa_system_sgpr_workgroup_id_y 0
		.amdhsa_system_sgpr_workgroup_id_z 0
		.amdhsa_system_sgpr_workgroup_info 0
		.amdhsa_system_vgpr_workitem_id 0
		.amdhsa_next_free_vgpr 6
		.amdhsa_next_free_sgpr 20
		.amdhsa_accum_offset 8
		.amdhsa_reserve_vcc 1
		.amdhsa_reserve_flat_scratch 0
		.amdhsa_float_round_mode_32 0
		.amdhsa_float_round_mode_16_64 0
		.amdhsa_float_denorm_mode_32 3
		.amdhsa_float_denorm_mode_16_64 3
		.amdhsa_dx10_clamp 1
		.amdhsa_ieee_mode 1
		.amdhsa_fp16_overflow 0
		.amdhsa_tg_split 0
		.amdhsa_exception_fp_ieee_invalid_op 0
		.amdhsa_exception_fp_denorm_src 0
		.amdhsa_exception_fp_ieee_div_zero 0
		.amdhsa_exception_fp_ieee_overflow 0
		.amdhsa_exception_fp_ieee_underflow 0
		.amdhsa_exception_fp_ieee_inexact 0
		.amdhsa_exception_int_div_zero 0
	.end_amdhsa_kernel
	.section	.text._ZN9rocsparseL19ell2csr_nnz_per_rowILj256EliEEvT1_S1_S1_PKS1_21rocsparse_index_base_PT0_S4_,"axG",@progbits,_ZN9rocsparseL19ell2csr_nnz_per_rowILj256EliEEvT1_S1_S1_PKS1_21rocsparse_index_base_PT0_S4_,comdat
.Lfunc_end18:
	.size	_ZN9rocsparseL19ell2csr_nnz_per_rowILj256EliEEvT1_S1_S1_PKS1_21rocsparse_index_base_PT0_S4_, .Lfunc_end18-_ZN9rocsparseL19ell2csr_nnz_per_rowILj256EliEEvT1_S1_S1_PKS1_21rocsparse_index_base_PT0_S4_
                                        ; -- End function
	.section	.AMDGPU.csdata,"",@progbits
; Kernel info:
; codeLenInByte = 328
; NumSgprs: 24
; NumVgprs: 6
; NumAgprs: 0
; TotalNumVgprs: 6
; ScratchSize: 0
; MemoryBound: 0
; FloatMode: 240
; IeeeMode: 1
; LDSByteSize: 0 bytes/workgroup (compile time only)
; SGPRBlocks: 2
; VGPRBlocks: 0
; NumSGPRsForWavesPerEU: 24
; NumVGPRsForWavesPerEU: 6
; AccumOffset: 8
; Occupancy: 8
; WaveLimiterHint : 0
; COMPUTE_PGM_RSRC2:SCRATCH_EN: 0
; COMPUTE_PGM_RSRC2:USER_SGPR: 6
; COMPUTE_PGM_RSRC2:TRAP_HANDLER: 0
; COMPUTE_PGM_RSRC2:TGID_X_EN: 1
; COMPUTE_PGM_RSRC2:TGID_Y_EN: 0
; COMPUTE_PGM_RSRC2:TGID_Z_EN: 0
; COMPUTE_PGM_RSRC2:TIDIG_COMP_CNT: 0
; COMPUTE_PGM_RSRC3_GFX90A:ACCUM_OFFSET: 1
; COMPUTE_PGM_RSRC3_GFX90A:TG_SPLIT: 0
	.section	.text._ZN9rocsparseL18ell2csr_index_baseILj1ElEEvPT0_,"axG",@progbits,_ZN9rocsparseL18ell2csr_index_baseILj1ElEEvPT0_,comdat
	.globl	_ZN9rocsparseL18ell2csr_index_baseILj1ElEEvPT0_ ; -- Begin function _ZN9rocsparseL18ell2csr_index_baseILj1ElEEvPT0_
	.p2align	8
	.type	_ZN9rocsparseL18ell2csr_index_baseILj1ElEEvPT0_,@function
_ZN9rocsparseL18ell2csr_index_baseILj1ElEEvPT0_: ; @_ZN9rocsparseL18ell2csr_index_baseILj1ElEEvPT0_
; %bb.0:
	s_load_dwordx2 s[0:1], s[4:5], 0x0
	v_mov_b32_e32 v2, 0
	s_waitcnt lgkmcnt(0)
	s_load_dwordx2 s[2:3], s[0:1], 0x0
	s_waitcnt lgkmcnt(0)
	s_add_u32 s2, s2, -1
	s_addc_u32 s3, s3, -1
	v_pk_mov_b32 v[0:1], s[2:3], s[2:3] op_sel:[0,1]
	global_store_dwordx2 v2, v[0:1], s[0:1]
	s_endpgm
	.section	.rodata,"a",@progbits
	.p2align	6, 0x0
	.amdhsa_kernel _ZN9rocsparseL18ell2csr_index_baseILj1ElEEvPT0_
		.amdhsa_group_segment_fixed_size 0
		.amdhsa_private_segment_fixed_size 0
		.amdhsa_kernarg_size 8
		.amdhsa_user_sgpr_count 6
		.amdhsa_user_sgpr_private_segment_buffer 1
		.amdhsa_user_sgpr_dispatch_ptr 0
		.amdhsa_user_sgpr_queue_ptr 0
		.amdhsa_user_sgpr_kernarg_segment_ptr 1
		.amdhsa_user_sgpr_dispatch_id 0
		.amdhsa_user_sgpr_flat_scratch_init 0
		.amdhsa_user_sgpr_kernarg_preload_length 0
		.amdhsa_user_sgpr_kernarg_preload_offset 0
		.amdhsa_user_sgpr_private_segment_size 0
		.amdhsa_uses_dynamic_stack 0
		.amdhsa_system_sgpr_private_segment_wavefront_offset 0
		.amdhsa_system_sgpr_workgroup_id_x 1
		.amdhsa_system_sgpr_workgroup_id_y 0
		.amdhsa_system_sgpr_workgroup_id_z 0
		.amdhsa_system_sgpr_workgroup_info 0
		.amdhsa_system_vgpr_workitem_id 0
		.amdhsa_next_free_vgpr 3
		.amdhsa_next_free_sgpr 6
		.amdhsa_accum_offset 4
		.amdhsa_reserve_vcc 0
		.amdhsa_reserve_flat_scratch 0
		.amdhsa_float_round_mode_32 0
		.amdhsa_float_round_mode_16_64 0
		.amdhsa_float_denorm_mode_32 3
		.amdhsa_float_denorm_mode_16_64 3
		.amdhsa_dx10_clamp 1
		.amdhsa_ieee_mode 1
		.amdhsa_fp16_overflow 0
		.amdhsa_tg_split 0
		.amdhsa_exception_fp_ieee_invalid_op 0
		.amdhsa_exception_fp_denorm_src 0
		.amdhsa_exception_fp_ieee_div_zero 0
		.amdhsa_exception_fp_ieee_overflow 0
		.amdhsa_exception_fp_ieee_underflow 0
		.amdhsa_exception_fp_ieee_inexact 0
		.amdhsa_exception_int_div_zero 0
	.end_amdhsa_kernel
	.section	.text._ZN9rocsparseL18ell2csr_index_baseILj1ElEEvPT0_,"axG",@progbits,_ZN9rocsparseL18ell2csr_index_baseILj1ElEEvPT0_,comdat
.Lfunc_end19:
	.size	_ZN9rocsparseL18ell2csr_index_baseILj1ElEEvPT0_, .Lfunc_end19-_ZN9rocsparseL18ell2csr_index_baseILj1ElEEvPT0_
                                        ; -- End function
	.section	.AMDGPU.csdata,"",@progbits
; Kernel info:
; codeLenInByte = 56
; NumSgprs: 10
; NumVgprs: 3
; NumAgprs: 0
; TotalNumVgprs: 3
; ScratchSize: 0
; MemoryBound: 1
; FloatMode: 240
; IeeeMode: 1
; LDSByteSize: 0 bytes/workgroup (compile time only)
; SGPRBlocks: 1
; VGPRBlocks: 0
; NumSGPRsForWavesPerEU: 10
; NumVGPRsForWavesPerEU: 3
; AccumOffset: 4
; Occupancy: 8
; WaveLimiterHint : 1
; COMPUTE_PGM_RSRC2:SCRATCH_EN: 0
; COMPUTE_PGM_RSRC2:USER_SGPR: 6
; COMPUTE_PGM_RSRC2:TRAP_HANDLER: 0
; COMPUTE_PGM_RSRC2:TGID_X_EN: 1
; COMPUTE_PGM_RSRC2:TGID_Y_EN: 0
; COMPUTE_PGM_RSRC2:TGID_Z_EN: 0
; COMPUTE_PGM_RSRC2:TIDIG_COMP_CNT: 0
; COMPUTE_PGM_RSRC3_GFX90A:ACCUM_OFFSET: 0
; COMPUTE_PGM_RSRC3_GFX90A:TG_SPLIT: 0
	.section	.text._ZN9rocsparseL19ell2csr_nnz_per_rowILj256EilEEvT1_S1_S1_PKS1_21rocsparse_index_base_PT0_S4_,"axG",@progbits,_ZN9rocsparseL19ell2csr_nnz_per_rowILj256EilEEvT1_S1_S1_PKS1_21rocsparse_index_base_PT0_S4_,comdat
	.globl	_ZN9rocsparseL19ell2csr_nnz_per_rowILj256EilEEvT1_S1_S1_PKS1_21rocsparse_index_base_PT0_S4_ ; -- Begin function _ZN9rocsparseL19ell2csr_nnz_per_rowILj256EilEEvT1_S1_S1_PKS1_21rocsparse_index_base_PT0_S4_
	.p2align	8
	.type	_ZN9rocsparseL19ell2csr_nnz_per_rowILj256EilEEvT1_S1_S1_PKS1_21rocsparse_index_base_PT0_S4_,@function
_ZN9rocsparseL19ell2csr_nnz_per_rowILj256EilEEvT1_S1_S1_PKS1_21rocsparse_index_base_PT0_S4_: ; @_ZN9rocsparseL19ell2csr_nnz_per_rowILj256EilEEvT1_S1_S1_PKS1_21rocsparse_index_base_PT0_S4_
; %bb.0:
	s_load_dwordx4 s[0:3], s[4:5], 0x0
	s_mov_b32 s7, 0
	s_lshl_b64 s[8:9], s[6:7], 8
	v_or_b32_e32 v2, s8, v0
	v_mov_b32_e32 v3, s9
	s_waitcnt lgkmcnt(0)
	v_cmp_gt_i64_e32 vcc, s[0:1], v[2:3]
	s_and_saveexec_b64 s[8:9], vcc
	s_cbranch_execz .LBB20_11
; %bb.1:
	s_load_dwordx2 s[10:11], s[4:5], 0x10
	s_load_dwordx2 s[8:9], s[4:5], 0x28
	v_cmp_eq_u64_e32 vcc, 0, v[2:3]
	s_and_saveexec_b64 s[12:13], vcc
	s_cbranch_execz .LBB20_3
; %bb.2:
	s_load_dword s1, s[4:5], 0x30
	v_mov_b32_e32 v1, 0
	s_waitcnt lgkmcnt(0)
	v_mov_b32_e32 v4, s1
	global_store_dword v1, v4, s[8:9]
.LBB20_3:
	s_or_b64 exec, exec, s[12:13]
	s_waitcnt lgkmcnt(0)
	v_cmp_lt_i64_e64 s[12:13], s[10:11], 1
	s_and_b64 vcc, exec, s[12:13]
	s_cbranch_vccnz .LBB20_9
; %bb.4:
	s_load_dwordx2 s[12:13], s[4:5], 0x18
	s_load_dword s16, s[4:5], 0x20
	s_mov_b32 s1, 0
	s_lshl_b32 s4, s6, 8
	v_or_b32_e32 v1, s4, v0
	v_mov_b32_e32 v0, 0
	s_mov_b32 s17, s0
	s_mov_b64 s[4:5], 0
	s_waitcnt lgkmcnt(0)
	v_mov_b32_e32 v6, s13
	v_mov_b32_e32 v7, s1
	s_mov_b64 s[14:15], 0
                                        ; implicit-def: $sgpr6_sgpr7
	s_branch .LBB20_6
.LBB20_5:                               ;   in Loop: Header=BB20_6 Depth=1
	s_or_b64 exec, exec, s[0:1]
	s_and_b64 s[0:1], exec, s[6:7]
	s_or_b64 s[4:5], s[0:1], s[4:5]
	s_andn2_b64 exec, exec, s[4:5]
	s_cbranch_execz .LBB20_8
.LBB20_6:                               ; =>This Inner Loop Header: Depth=1
	v_ashrrev_i64 v[4:5], 29, v[0:1]
	v_add_co_u32_e32 v4, vcc, s12, v4
	v_addc_co_u32_e32 v5, vcc, v6, v5, vcc
	global_load_dwordx2 v[8:9], v[4:5], off
	v_pk_mov_b32 v[4:5], s[14:15], s[14:15] op_sel:[0,1]
	s_or_b64 s[6:7], s[6:7], exec
	s_waitcnt vmcnt(0)
	v_subrev_co_u32_e32 v8, vcc, s16, v8
	v_subb_co_u32_e32 v9, vcc, v9, v7, vcc
	v_cmp_lt_i64_e32 vcc, -1, v[8:9]
	v_cmp_gt_i64_e64 s[0:1], s[2:3], v[8:9]
	s_and_b64 s[18:19], vcc, s[0:1]
	s_and_saveexec_b64 s[0:1], s[18:19]
	s_cbranch_execz .LBB20_5
; %bb.7:                                ;   in Loop: Header=BB20_6 Depth=1
	s_add_u32 s14, s14, 1
	v_mov_b32_e32 v4, s17
	v_add_co_u32_e32 v0, vcc, 0, v0
	s_addc_u32 s15, s15, 0
	v_addc_co_u32_e32 v1, vcc, v1, v4, vcc
	v_pk_mov_b32 v[4:5], s[10:11], s[10:11] op_sel:[0,1]
	v_cmp_ge_i64_e32 vcc, s[14:15], v[4:5]
	s_andn2_b64 s[6:7], s[6:7], exec
	s_and_b64 s[18:19], vcc, exec
	s_or_b64 s[6:7], s[6:7], s[18:19]
	s_branch .LBB20_5
.LBB20_8:
	s_or_b64 exec, exec, s[4:5]
	s_branch .LBB20_10
.LBB20_9:
	v_mov_b32_e32 v4, 0
.LBB20_10:
	v_lshlrev_b64 v[0:1], 2, v[2:3]
	v_mov_b32_e32 v2, s9
	v_add_co_u32_e32 v0, vcc, s8, v0
	v_addc_co_u32_e32 v1, vcc, v2, v1, vcc
	global_store_dword v[0:1], v4, off offset:4
.LBB20_11:
	s_endpgm
	.section	.rodata,"a",@progbits
	.p2align	6, 0x0
	.amdhsa_kernel _ZN9rocsparseL19ell2csr_nnz_per_rowILj256EilEEvT1_S1_S1_PKS1_21rocsparse_index_base_PT0_S4_
		.amdhsa_group_segment_fixed_size 0
		.amdhsa_private_segment_fixed_size 0
		.amdhsa_kernarg_size 52
		.amdhsa_user_sgpr_count 6
		.amdhsa_user_sgpr_private_segment_buffer 1
		.amdhsa_user_sgpr_dispatch_ptr 0
		.amdhsa_user_sgpr_queue_ptr 0
		.amdhsa_user_sgpr_kernarg_segment_ptr 1
		.amdhsa_user_sgpr_dispatch_id 0
		.amdhsa_user_sgpr_flat_scratch_init 0
		.amdhsa_user_sgpr_kernarg_preload_length 0
		.amdhsa_user_sgpr_kernarg_preload_offset 0
		.amdhsa_user_sgpr_private_segment_size 0
		.amdhsa_uses_dynamic_stack 0
		.amdhsa_system_sgpr_private_segment_wavefront_offset 0
		.amdhsa_system_sgpr_workgroup_id_x 1
		.amdhsa_system_sgpr_workgroup_id_y 0
		.amdhsa_system_sgpr_workgroup_id_z 0
		.amdhsa_system_sgpr_workgroup_info 0
		.amdhsa_system_vgpr_workitem_id 0
		.amdhsa_next_free_vgpr 10
		.amdhsa_next_free_sgpr 20
		.amdhsa_accum_offset 12
		.amdhsa_reserve_vcc 1
		.amdhsa_reserve_flat_scratch 0
		.amdhsa_float_round_mode_32 0
		.amdhsa_float_round_mode_16_64 0
		.amdhsa_float_denorm_mode_32 3
		.amdhsa_float_denorm_mode_16_64 3
		.amdhsa_dx10_clamp 1
		.amdhsa_ieee_mode 1
		.amdhsa_fp16_overflow 0
		.amdhsa_tg_split 0
		.amdhsa_exception_fp_ieee_invalid_op 0
		.amdhsa_exception_fp_denorm_src 0
		.amdhsa_exception_fp_ieee_div_zero 0
		.amdhsa_exception_fp_ieee_overflow 0
		.amdhsa_exception_fp_ieee_underflow 0
		.amdhsa_exception_fp_ieee_inexact 0
		.amdhsa_exception_int_div_zero 0
	.end_amdhsa_kernel
	.section	.text._ZN9rocsparseL19ell2csr_nnz_per_rowILj256EilEEvT1_S1_S1_PKS1_21rocsparse_index_base_PT0_S4_,"axG",@progbits,_ZN9rocsparseL19ell2csr_nnz_per_rowILj256EilEEvT1_S1_S1_PKS1_21rocsparse_index_base_PT0_S4_,comdat
.Lfunc_end20:
	.size	_ZN9rocsparseL19ell2csr_nnz_per_rowILj256EilEEvT1_S1_S1_PKS1_21rocsparse_index_base_PT0_S4_, .Lfunc_end20-_ZN9rocsparseL19ell2csr_nnz_per_rowILj256EilEEvT1_S1_S1_PKS1_21rocsparse_index_base_PT0_S4_
                                        ; -- End function
	.section	.AMDGPU.csdata,"",@progbits
; Kernel info:
; codeLenInByte = 364
; NumSgprs: 24
; NumVgprs: 10
; NumAgprs: 0
; TotalNumVgprs: 10
; ScratchSize: 0
; MemoryBound: 0
; FloatMode: 240
; IeeeMode: 1
; LDSByteSize: 0 bytes/workgroup (compile time only)
; SGPRBlocks: 2
; VGPRBlocks: 1
; NumSGPRsForWavesPerEU: 24
; NumVGPRsForWavesPerEU: 10
; AccumOffset: 12
; Occupancy: 8
; WaveLimiterHint : 0
; COMPUTE_PGM_RSRC2:SCRATCH_EN: 0
; COMPUTE_PGM_RSRC2:USER_SGPR: 6
; COMPUTE_PGM_RSRC2:TRAP_HANDLER: 0
; COMPUTE_PGM_RSRC2:TGID_X_EN: 1
; COMPUTE_PGM_RSRC2:TGID_Y_EN: 0
; COMPUTE_PGM_RSRC2:TGID_Z_EN: 0
; COMPUTE_PGM_RSRC2:TIDIG_COMP_CNT: 0
; COMPUTE_PGM_RSRC3_GFX90A:ACCUM_OFFSET: 2
; COMPUTE_PGM_RSRC3_GFX90A:TG_SPLIT: 0
	.section	.text._ZN9rocsparseL19ell2csr_nnz_per_rowILj256EllEEvT1_S1_S1_PKS1_21rocsparse_index_base_PT0_S4_,"axG",@progbits,_ZN9rocsparseL19ell2csr_nnz_per_rowILj256EllEEvT1_S1_S1_PKS1_21rocsparse_index_base_PT0_S4_,comdat
	.globl	_ZN9rocsparseL19ell2csr_nnz_per_rowILj256EllEEvT1_S1_S1_PKS1_21rocsparse_index_base_PT0_S4_ ; -- Begin function _ZN9rocsparseL19ell2csr_nnz_per_rowILj256EllEEvT1_S1_S1_PKS1_21rocsparse_index_base_PT0_S4_
	.p2align	8
	.type	_ZN9rocsparseL19ell2csr_nnz_per_rowILj256EllEEvT1_S1_S1_PKS1_21rocsparse_index_base_PT0_S4_,@function
_ZN9rocsparseL19ell2csr_nnz_per_rowILj256EllEEvT1_S1_S1_PKS1_21rocsparse_index_base_PT0_S4_: ; @_ZN9rocsparseL19ell2csr_nnz_per_rowILj256EllEEvT1_S1_S1_PKS1_21rocsparse_index_base_PT0_S4_
; %bb.0:
	s_load_dwordx4 s[0:3], s[4:5], 0x0
	s_mov_b32 s7, 0
	s_lshl_b64 s[6:7], s[6:7], 8
	v_or_b32_e32 v0, s6, v0
	v_mov_b32_e32 v1, s7
	s_waitcnt lgkmcnt(0)
	v_cmp_gt_i64_e32 vcc, s[0:1], v[0:1]
	s_and_saveexec_b64 s[6:7], vcc
	s_cbranch_execz .LBB21_11
; %bb.1:
	s_load_dwordx2 s[8:9], s[4:5], 0x10
	s_load_dwordx2 s[6:7], s[4:5], 0x28
	v_cmp_eq_u64_e32 vcc, 0, v[0:1]
	s_and_saveexec_b64 s[10:11], vcc
	s_cbranch_execz .LBB21_3
; %bb.2:
	s_load_dword s12, s[4:5], 0x30
	v_mov_b32_e32 v3, 0
	s_waitcnt lgkmcnt(0)
	v_mov_b32_e32 v2, s12
	global_store_dwordx2 v3, v[2:3], s[6:7]
.LBB21_3:
	s_or_b64 exec, exec, s[10:11]
	s_waitcnt lgkmcnt(0)
	v_cmp_lt_i64_e64 s[10:11], s[8:9], 1
	s_and_b64 vcc, exec, s[10:11]
	v_lshlrev_b64 v[0:1], 3, v[0:1]
	s_cbranch_vccnz .LBB21_9
; %bb.4:
	s_load_dwordx2 s[10:11], s[4:5], 0x18
	s_load_dword s16, s[4:5], 0x20
	s_mov_b32 s12, 0
	s_mov_b64 s[4:5], 0
	v_mov_b32_e32 v6, s12
	s_waitcnt lgkmcnt(0)
	v_mov_b32_e32 v3, s11
	v_add_co_u32_e32 v2, vcc, s10, v0
	v_addc_co_u32_e32 v3, vcc, v3, v1, vcc
	s_lshl_b64 s[10:11], s[0:1], 3
	s_mov_b64 s[14:15], 0
                                        ; implicit-def: $sgpr12_sgpr13
	s_branch .LBB21_6
.LBB21_5:                               ;   in Loop: Header=BB21_6 Depth=1
	s_or_b64 exec, exec, s[0:1]
	s_and_b64 s[0:1], exec, s[12:13]
	s_or_b64 s[4:5], s[0:1], s[4:5]
	s_andn2_b64 exec, exec, s[4:5]
	s_cbranch_execz .LBB21_8
.LBB21_6:                               ; =>This Inner Loop Header: Depth=1
	global_load_dwordx2 v[8:9], v[2:3], off
	v_pk_mov_b32 v[4:5], s[14:15], s[14:15] op_sel:[0,1]
	s_or_b64 s[12:13], s[12:13], exec
	s_waitcnt vmcnt(0)
	v_subrev_co_u32_e32 v8, vcc, s16, v8
	v_subb_co_u32_e32 v9, vcc, v9, v6, vcc
	v_cmp_lt_i64_e32 vcc, -1, v[8:9]
	v_cmp_gt_i64_e64 s[0:1], s[2:3], v[8:9]
	s_and_b64 s[18:19], vcc, s[0:1]
	s_and_saveexec_b64 s[0:1], s[18:19]
	s_cbranch_execz .LBB21_5
; %bb.7:                                ;   in Loop: Header=BB21_6 Depth=1
	s_add_u32 s14, s14, 1
	s_addc_u32 s15, s15, 0
	s_cmp_eq_u64 s[8:9], s[14:15]
	s_cselect_b64 s[18:19], -1, 0
	v_mov_b32_e32 v4, s11
	v_add_co_u32_e32 v2, vcc, s10, v2
	s_andn2_b64 s[12:13], s[12:13], exec
	s_and_b64 s[18:19], s[18:19], exec
	v_addc_co_u32_e32 v3, vcc, v3, v4, vcc
	v_pk_mov_b32 v[4:5], s[8:9], s[8:9] op_sel:[0,1]
	s_or_b64 s[12:13], s[12:13], s[18:19]
	s_branch .LBB21_5
.LBB21_8:
	s_or_b64 exec, exec, s[4:5]
	s_branch .LBB21_10
.LBB21_9:
	v_pk_mov_b32 v[4:5], 0, 0
.LBB21_10:
	v_mov_b32_e32 v2, s7
	v_add_co_u32_e32 v0, vcc, s6, v0
	v_addc_co_u32_e32 v1, vcc, v2, v1, vcc
	global_store_dwordx2 v[0:1], v[4:5], off offset:8
.LBB21_11:
	s_endpgm
	.section	.rodata,"a",@progbits
	.p2align	6, 0x0
	.amdhsa_kernel _ZN9rocsparseL19ell2csr_nnz_per_rowILj256EllEEvT1_S1_S1_PKS1_21rocsparse_index_base_PT0_S4_
		.amdhsa_group_segment_fixed_size 0
		.amdhsa_private_segment_fixed_size 0
		.amdhsa_kernarg_size 52
		.amdhsa_user_sgpr_count 6
		.amdhsa_user_sgpr_private_segment_buffer 1
		.amdhsa_user_sgpr_dispatch_ptr 0
		.amdhsa_user_sgpr_queue_ptr 0
		.amdhsa_user_sgpr_kernarg_segment_ptr 1
		.amdhsa_user_sgpr_dispatch_id 0
		.amdhsa_user_sgpr_flat_scratch_init 0
		.amdhsa_user_sgpr_kernarg_preload_length 0
		.amdhsa_user_sgpr_kernarg_preload_offset 0
		.amdhsa_user_sgpr_private_segment_size 0
		.amdhsa_uses_dynamic_stack 0
		.amdhsa_system_sgpr_private_segment_wavefront_offset 0
		.amdhsa_system_sgpr_workgroup_id_x 1
		.amdhsa_system_sgpr_workgroup_id_y 0
		.amdhsa_system_sgpr_workgroup_id_z 0
		.amdhsa_system_sgpr_workgroup_info 0
		.amdhsa_system_vgpr_workitem_id 0
		.amdhsa_next_free_vgpr 10
		.amdhsa_next_free_sgpr 20
		.amdhsa_accum_offset 12
		.amdhsa_reserve_vcc 1
		.amdhsa_reserve_flat_scratch 0
		.amdhsa_float_round_mode_32 0
		.amdhsa_float_round_mode_16_64 0
		.amdhsa_float_denorm_mode_32 3
		.amdhsa_float_denorm_mode_16_64 3
		.amdhsa_dx10_clamp 1
		.amdhsa_ieee_mode 1
		.amdhsa_fp16_overflow 0
		.amdhsa_tg_split 0
		.amdhsa_exception_fp_ieee_invalid_op 0
		.amdhsa_exception_fp_denorm_src 0
		.amdhsa_exception_fp_ieee_div_zero 0
		.amdhsa_exception_fp_ieee_overflow 0
		.amdhsa_exception_fp_ieee_underflow 0
		.amdhsa_exception_fp_ieee_inexact 0
		.amdhsa_exception_int_div_zero 0
	.end_amdhsa_kernel
	.section	.text._ZN9rocsparseL19ell2csr_nnz_per_rowILj256EllEEvT1_S1_S1_PKS1_21rocsparse_index_base_PT0_S4_,"axG",@progbits,_ZN9rocsparseL19ell2csr_nnz_per_rowILj256EllEEvT1_S1_S1_PKS1_21rocsparse_index_base_PT0_S4_,comdat
.Lfunc_end21:
	.size	_ZN9rocsparseL19ell2csr_nnz_per_rowILj256EllEEvT1_S1_S1_PKS1_21rocsparse_index_base_PT0_S4_, .Lfunc_end21-_ZN9rocsparseL19ell2csr_nnz_per_rowILj256EllEEvT1_S1_S1_PKS1_21rocsparse_index_base_PT0_S4_
                                        ; -- End function
	.section	.AMDGPU.csdata,"",@progbits
; Kernel info:
; codeLenInByte = 352
; NumSgprs: 24
; NumVgprs: 10
; NumAgprs: 0
; TotalNumVgprs: 10
; ScratchSize: 0
; MemoryBound: 0
; FloatMode: 240
; IeeeMode: 1
; LDSByteSize: 0 bytes/workgroup (compile time only)
; SGPRBlocks: 2
; VGPRBlocks: 1
; NumSGPRsForWavesPerEU: 24
; NumVGPRsForWavesPerEU: 10
; AccumOffset: 12
; Occupancy: 8
; WaveLimiterHint : 0
; COMPUTE_PGM_RSRC2:SCRATCH_EN: 0
; COMPUTE_PGM_RSRC2:USER_SGPR: 6
; COMPUTE_PGM_RSRC2:TRAP_HANDLER: 0
; COMPUTE_PGM_RSRC2:TGID_X_EN: 1
; COMPUTE_PGM_RSRC2:TGID_Y_EN: 0
; COMPUTE_PGM_RSRC2:TGID_Z_EN: 0
; COMPUTE_PGM_RSRC2:TIDIG_COMP_CNT: 0
; COMPUTE_PGM_RSRC3_GFX90A:ACCUM_OFFSET: 2
; COMPUTE_PGM_RSRC3_GFX90A:TG_SPLIT: 0
	.text
	.p2alignl 6, 3212836864
	.fill 256, 4, 3212836864
	.type	__hip_cuid_85b06c31747108d4,@object ; @__hip_cuid_85b06c31747108d4
	.section	.bss,"aw",@nobits
	.globl	__hip_cuid_85b06c31747108d4
__hip_cuid_85b06c31747108d4:
	.byte	0                               ; 0x0
	.size	__hip_cuid_85b06c31747108d4, 1

	.ident	"AMD clang version 19.0.0git (https://github.com/RadeonOpenCompute/llvm-project roc-6.4.0 25133 c7fe45cf4b819c5991fe208aaa96edf142730f1d)"
	.section	".note.GNU-stack","",@progbits
	.addrsig
	.addrsig_sym __hip_cuid_85b06c31747108d4
	.amdgpu_metadata
---
amdhsa.kernels:
  - .agpr_count:     0
    .args:
      - .offset:         0
        .size:           4
        .value_kind:     by_value
      - .offset:         4
        .size:           4
        .value_kind:     by_value
      - .offset:         8
        .size:           4
        .value_kind:     by_value
      - .actual_access:  read_only
        .address_space:  global
        .offset:         16
        .size:           8
        .value_kind:     global_buffer
      - .actual_access:  read_only
        .address_space:  global
        .offset:         24
        .size:           8
        .value_kind:     global_buffer
      - .offset:         32
        .size:           4
        .value_kind:     by_value
      - .actual_access:  read_only
        .address_space:  global
        .offset:         40
        .size:           8
        .value_kind:     global_buffer
      - .actual_access:  write_only
        .address_space:  global
        .offset:         48
        .size:           8
        .value_kind:     global_buffer
      - .actual_access:  write_only
        .address_space:  global
        .offset:         56
        .size:           8
        .value_kind:     global_buffer
      - .offset:         64
        .size:           4
        .value_kind:     by_value
    .group_segment_fixed_size: 0
    .kernarg_segment_align: 8
    .kernarg_segment_size: 68
    .language:       OpenCL C
    .language_version:
      - 2
      - 0
    .max_flat_workgroup_size: 256
    .name:           _ZN9rocsparseL12ell2csr_fillILj256EfiiEEvT2_S1_S1_PKS1_PKT0_21rocsparse_index_base_PKT1_PS1_PS4_S7_
    .private_segment_fixed_size: 0
    .sgpr_count:     26
    .sgpr_spill_count: 0
    .symbol:         _ZN9rocsparseL12ell2csr_fillILj256EfiiEEvT2_S1_S1_PKS1_PKT0_21rocsparse_index_base_PKT1_PS1_PS4_S7_.kd
    .uniform_work_group_size: 1
    .uses_dynamic_stack: false
    .vgpr_count:     10
    .vgpr_spill_count: 0
    .wavefront_size: 64
  - .agpr_count:     0
    .args:
      - .offset:         0
        .size:           4
        .value_kind:     by_value
      - .offset:         4
        .size:           4
        .value_kind:     by_value
      - .offset:         8
        .size:           4
        .value_kind:     by_value
      - .actual_access:  read_only
        .address_space:  global
        .offset:         16
        .size:           8
        .value_kind:     global_buffer
      - .actual_access:  read_only
        .address_space:  global
        .offset:         24
        .size:           8
        .value_kind:     global_buffer
      - .offset:         32
        .size:           4
        .value_kind:     by_value
      - .actual_access:  read_only
        .address_space:  global
        .offset:         40
        .size:           8
        .value_kind:     global_buffer
      - .actual_access:  write_only
        .address_space:  global
        .offset:         48
        .size:           8
        .value_kind:     global_buffer
      - .actual_access:  write_only
        .address_space:  global
        .offset:         56
        .size:           8
        .value_kind:     global_buffer
      - .offset:         64
        .size:           4
        .value_kind:     by_value
    .group_segment_fixed_size: 0
    .kernarg_segment_align: 8
    .kernarg_segment_size: 68
    .language:       OpenCL C
    .language_version:
      - 2
      - 0
    .max_flat_workgroup_size: 256
    .name:           _ZN9rocsparseL12ell2csr_fillILj256E21rocsparse_complex_numIfEiiEEvT2_S3_S3_PKS3_PKT0_21rocsparse_index_base_PKT1_PS3_PS6_S9_
    .private_segment_fixed_size: 0
    .sgpr_count:     26
    .sgpr_spill_count: 0
    .symbol:         _ZN9rocsparseL12ell2csr_fillILj256E21rocsparse_complex_numIfEiiEEvT2_S3_S3_PKS3_PKT0_21rocsparse_index_base_PKT1_PS3_PS6_S9_.kd
    .uniform_work_group_size: 1
    .uses_dynamic_stack: false
    .vgpr_count:     12
    .vgpr_spill_count: 0
    .wavefront_size: 64
  - .agpr_count:     0
    .args:
      - .offset:         0
        .size:           4
        .value_kind:     by_value
      - .offset:         4
        .size:           4
        .value_kind:     by_value
      - .offset:         8
        .size:           4
        .value_kind:     by_value
      - .actual_access:  read_only
        .address_space:  global
        .offset:         16
        .size:           8
        .value_kind:     global_buffer
      - .actual_access:  read_only
        .address_space:  global
        .offset:         24
        .size:           8
        .value_kind:     global_buffer
      - .offset:         32
        .size:           4
        .value_kind:     by_value
      - .actual_access:  read_only
        .address_space:  global
        .offset:         40
        .size:           8
        .value_kind:     global_buffer
      - .actual_access:  write_only
        .address_space:  global
        .offset:         48
        .size:           8
        .value_kind:     global_buffer
      - .actual_access:  write_only
        .address_space:  global
        .offset:         56
        .size:           8
        .value_kind:     global_buffer
      - .offset:         64
        .size:           4
        .value_kind:     by_value
    .group_segment_fixed_size: 0
    .kernarg_segment_align: 8
    .kernarg_segment_size: 68
    .language:       OpenCL C
    .language_version:
      - 2
      - 0
    .max_flat_workgroup_size: 256
    .name:           _ZN9rocsparseL12ell2csr_fillILj256EdiiEEvT2_S1_S1_PKS1_PKT0_21rocsparse_index_base_PKT1_PS1_PS4_S7_
    .private_segment_fixed_size: 0
    .sgpr_count:     26
    .sgpr_spill_count: 0
    .symbol:         _ZN9rocsparseL12ell2csr_fillILj256EdiiEEvT2_S1_S1_PKS1_PKT0_21rocsparse_index_base_PKT1_PS1_PS4_S7_.kd
    .uniform_work_group_size: 1
    .uses_dynamic_stack: false
    .vgpr_count:     12
    .vgpr_spill_count: 0
    .wavefront_size: 64
  - .agpr_count:     0
    .args:
      - .offset:         0
        .size:           4
        .value_kind:     by_value
      - .offset:         4
        .size:           4
        .value_kind:     by_value
      - .offset:         8
        .size:           4
        .value_kind:     by_value
      - .actual_access:  read_only
        .address_space:  global
        .offset:         16
        .size:           8
        .value_kind:     global_buffer
      - .actual_access:  read_only
        .address_space:  global
        .offset:         24
        .size:           8
        .value_kind:     global_buffer
      - .offset:         32
        .size:           4
        .value_kind:     by_value
      - .actual_access:  read_only
        .address_space:  global
        .offset:         40
        .size:           8
        .value_kind:     global_buffer
      - .actual_access:  write_only
        .address_space:  global
        .offset:         48
        .size:           8
        .value_kind:     global_buffer
      - .actual_access:  write_only
        .address_space:  global
        .offset:         56
        .size:           8
        .value_kind:     global_buffer
      - .offset:         64
        .size:           4
        .value_kind:     by_value
    .group_segment_fixed_size: 0
    .kernarg_segment_align: 8
    .kernarg_segment_size: 68
    .language:       OpenCL C
    .language_version:
      - 2
      - 0
    .max_flat_workgroup_size: 256
    .name:           _ZN9rocsparseL12ell2csr_fillILj256E21rocsparse_complex_numIdEiiEEvT2_S3_S3_PKS3_PKT0_21rocsparse_index_base_PKT1_PS3_PS6_S9_
    .private_segment_fixed_size: 0
    .sgpr_count:     26
    .sgpr_spill_count: 0
    .symbol:         _ZN9rocsparseL12ell2csr_fillILj256E21rocsparse_complex_numIdEiiEEvT2_S3_S3_PKS3_PKT0_21rocsparse_index_base_PKT1_PS3_PS6_S9_.kd
    .uniform_work_group_size: 1
    .uses_dynamic_stack: false
    .vgpr_count:     14
    .vgpr_spill_count: 0
    .wavefront_size: 64
  - .agpr_count:     0
    .args:
      - .offset:         0
        .size:           4
        .value_kind:     by_value
      - .offset:         4
        .size:           4
        .value_kind:     by_value
      - .offset:         8
        .size:           4
        .value_kind:     by_value
      - .actual_access:  read_only
        .address_space:  global
        .offset:         16
        .size:           8
        .value_kind:     global_buffer
      - .actual_access:  read_only
        .address_space:  global
        .offset:         24
        .size:           8
        .value_kind:     global_buffer
      - .offset:         32
        .size:           4
        .value_kind:     by_value
      - .actual_access:  read_only
        .address_space:  global
        .offset:         40
        .size:           8
        .value_kind:     global_buffer
      - .actual_access:  write_only
        .address_space:  global
        .offset:         48
        .size:           8
        .value_kind:     global_buffer
      - .actual_access:  write_only
        .address_space:  global
        .offset:         56
        .size:           8
        .value_kind:     global_buffer
      - .offset:         64
        .size:           4
        .value_kind:     by_value
    .group_segment_fixed_size: 0
    .kernarg_segment_align: 8
    .kernarg_segment_size: 68
    .language:       OpenCL C
    .language_version:
      - 2
      - 0
    .max_flat_workgroup_size: 256
    .name:           _ZN9rocsparseL12ell2csr_fillILj256EfliEEvT2_S1_S1_PKS1_PKT0_21rocsparse_index_base_PKT1_PS1_PS4_S7_
    .private_segment_fixed_size: 0
    .sgpr_count:     26
    .sgpr_spill_count: 0
    .symbol:         _ZN9rocsparseL12ell2csr_fillILj256EfliEEvT2_S1_S1_PKS1_PKT0_21rocsparse_index_base_PKT1_PS1_PS4_S7_.kd
    .uniform_work_group_size: 1
    .uses_dynamic_stack: false
    .vgpr_count:     11
    .vgpr_spill_count: 0
    .wavefront_size: 64
  - .agpr_count:     0
    .args:
      - .offset:         0
        .size:           4
        .value_kind:     by_value
      - .offset:         4
        .size:           4
        .value_kind:     by_value
      - .offset:         8
        .size:           4
        .value_kind:     by_value
      - .actual_access:  read_only
        .address_space:  global
        .offset:         16
        .size:           8
        .value_kind:     global_buffer
      - .actual_access:  read_only
        .address_space:  global
        .offset:         24
        .size:           8
        .value_kind:     global_buffer
      - .offset:         32
        .size:           4
        .value_kind:     by_value
      - .actual_access:  read_only
        .address_space:  global
        .offset:         40
        .size:           8
        .value_kind:     global_buffer
      - .actual_access:  write_only
        .address_space:  global
        .offset:         48
        .size:           8
        .value_kind:     global_buffer
      - .actual_access:  write_only
        .address_space:  global
        .offset:         56
        .size:           8
        .value_kind:     global_buffer
      - .offset:         64
        .size:           4
        .value_kind:     by_value
    .group_segment_fixed_size: 0
    .kernarg_segment_align: 8
    .kernarg_segment_size: 68
    .language:       OpenCL C
    .language_version:
      - 2
      - 0
    .max_flat_workgroup_size: 256
    .name:           _ZN9rocsparseL12ell2csr_fillILj256E21rocsparse_complex_numIfEliEEvT2_S3_S3_PKS3_PKT0_21rocsparse_index_base_PKT1_PS3_PS6_S9_
    .private_segment_fixed_size: 0
    .sgpr_count:     26
    .sgpr_spill_count: 0
    .symbol:         _ZN9rocsparseL12ell2csr_fillILj256E21rocsparse_complex_numIfEliEEvT2_S3_S3_PKS3_PKT0_21rocsparse_index_base_PKT1_PS3_PS6_S9_.kd
    .uniform_work_group_size: 1
    .uses_dynamic_stack: false
    .vgpr_count:     13
    .vgpr_spill_count: 0
    .wavefront_size: 64
  - .agpr_count:     0
    .args:
      - .offset:         0
        .size:           4
        .value_kind:     by_value
      - .offset:         4
        .size:           4
        .value_kind:     by_value
      - .offset:         8
        .size:           4
        .value_kind:     by_value
      - .actual_access:  read_only
        .address_space:  global
        .offset:         16
        .size:           8
        .value_kind:     global_buffer
      - .actual_access:  read_only
        .address_space:  global
        .offset:         24
        .size:           8
        .value_kind:     global_buffer
      - .offset:         32
        .size:           4
        .value_kind:     by_value
      - .actual_access:  read_only
        .address_space:  global
        .offset:         40
        .size:           8
        .value_kind:     global_buffer
      - .actual_access:  write_only
        .address_space:  global
        .offset:         48
        .size:           8
        .value_kind:     global_buffer
      - .actual_access:  write_only
        .address_space:  global
        .offset:         56
        .size:           8
        .value_kind:     global_buffer
      - .offset:         64
        .size:           4
        .value_kind:     by_value
    .group_segment_fixed_size: 0
    .kernarg_segment_align: 8
    .kernarg_segment_size: 68
    .language:       OpenCL C
    .language_version:
      - 2
      - 0
    .max_flat_workgroup_size: 256
    .name:           _ZN9rocsparseL12ell2csr_fillILj256EdliEEvT2_S1_S1_PKS1_PKT0_21rocsparse_index_base_PKT1_PS1_PS4_S7_
    .private_segment_fixed_size: 0
    .sgpr_count:     26
    .sgpr_spill_count: 0
    .symbol:         _ZN9rocsparseL12ell2csr_fillILj256EdliEEvT2_S1_S1_PKS1_PKT0_21rocsparse_index_base_PKT1_PS1_PS4_S7_.kd
    .uniform_work_group_size: 1
    .uses_dynamic_stack: false
    .vgpr_count:     13
    .vgpr_spill_count: 0
    .wavefront_size: 64
  - .agpr_count:     0
    .args:
      - .offset:         0
        .size:           4
        .value_kind:     by_value
      - .offset:         4
        .size:           4
        .value_kind:     by_value
      - .offset:         8
        .size:           4
        .value_kind:     by_value
      - .actual_access:  read_only
        .address_space:  global
        .offset:         16
        .size:           8
        .value_kind:     global_buffer
      - .actual_access:  read_only
        .address_space:  global
        .offset:         24
        .size:           8
        .value_kind:     global_buffer
      - .offset:         32
        .size:           4
        .value_kind:     by_value
      - .actual_access:  read_only
        .address_space:  global
        .offset:         40
        .size:           8
        .value_kind:     global_buffer
      - .actual_access:  write_only
        .address_space:  global
        .offset:         48
        .size:           8
        .value_kind:     global_buffer
      - .actual_access:  write_only
        .address_space:  global
        .offset:         56
        .size:           8
        .value_kind:     global_buffer
      - .offset:         64
        .size:           4
        .value_kind:     by_value
    .group_segment_fixed_size: 0
    .kernarg_segment_align: 8
    .kernarg_segment_size: 68
    .language:       OpenCL C
    .language_version:
      - 2
      - 0
    .max_flat_workgroup_size: 256
    .name:           _ZN9rocsparseL12ell2csr_fillILj256E21rocsparse_complex_numIdEliEEvT2_S3_S3_PKS3_PKT0_21rocsparse_index_base_PKT1_PS3_PS6_S9_
    .private_segment_fixed_size: 0
    .sgpr_count:     26
    .sgpr_spill_count: 0
    .symbol:         _ZN9rocsparseL12ell2csr_fillILj256E21rocsparse_complex_numIdEliEEvT2_S3_S3_PKS3_PKT0_21rocsparse_index_base_PKT1_PS3_PS6_S9_.kd
    .uniform_work_group_size: 1
    .uses_dynamic_stack: false
    .vgpr_count:     15
    .vgpr_spill_count: 0
    .wavefront_size: 64
  - .agpr_count:     0
    .args:
      - .offset:         0
        .size:           8
        .value_kind:     by_value
      - .offset:         8
        .size:           8
        .value_kind:     by_value
      - .offset:         16
        .size:           8
        .value_kind:     by_value
      - .actual_access:  read_only
        .address_space:  global
        .offset:         24
        .size:           8
        .value_kind:     global_buffer
      - .actual_access:  read_only
        .address_space:  global
        .offset:         32
        .size:           8
        .value_kind:     global_buffer
      - .offset:         40
        .size:           4
        .value_kind:     by_value
      - .actual_access:  read_only
        .address_space:  global
        .offset:         48
        .size:           8
        .value_kind:     global_buffer
      - .actual_access:  write_only
        .address_space:  global
        .offset:         56
        .size:           8
        .value_kind:     global_buffer
      - .actual_access:  write_only
        .address_space:  global
        .offset:         64
        .size:           8
        .value_kind:     global_buffer
      - .offset:         72
        .size:           4
        .value_kind:     by_value
    .group_segment_fixed_size: 0
    .kernarg_segment_align: 8
    .kernarg_segment_size: 76
    .language:       OpenCL C
    .language_version:
      - 2
      - 0
    .max_flat_workgroup_size: 256
    .name:           _ZN9rocsparseL12ell2csr_fillILj256EfilEEvT2_S1_S1_PKS1_PKT0_21rocsparse_index_base_PKT1_PS1_PS4_S7_
    .private_segment_fixed_size: 0
    .sgpr_count:     28
    .sgpr_spill_count: 0
    .symbol:         _ZN9rocsparseL12ell2csr_fillILj256EfilEEvT2_S1_S1_PKS1_PKT0_21rocsparse_index_base_PKT1_PS1_PS4_S7_.kd
    .uniform_work_group_size: 1
    .uses_dynamic_stack: false
    .vgpr_count:     14
    .vgpr_spill_count: 0
    .wavefront_size: 64
  - .agpr_count:     0
    .args:
      - .offset:         0
        .size:           8
        .value_kind:     by_value
      - .offset:         8
        .size:           8
        .value_kind:     by_value
      - .offset:         16
        .size:           8
        .value_kind:     by_value
      - .actual_access:  read_only
        .address_space:  global
        .offset:         24
        .size:           8
        .value_kind:     global_buffer
      - .actual_access:  read_only
        .address_space:  global
        .offset:         32
        .size:           8
        .value_kind:     global_buffer
      - .offset:         40
        .size:           4
        .value_kind:     by_value
      - .actual_access:  read_only
        .address_space:  global
        .offset:         48
        .size:           8
        .value_kind:     global_buffer
      - .actual_access:  write_only
        .address_space:  global
        .offset:         56
        .size:           8
        .value_kind:     global_buffer
      - .actual_access:  write_only
        .address_space:  global
        .offset:         64
        .size:           8
        .value_kind:     global_buffer
      - .offset:         72
        .size:           4
        .value_kind:     by_value
    .group_segment_fixed_size: 0
    .kernarg_segment_align: 8
    .kernarg_segment_size: 76
    .language:       OpenCL C
    .language_version:
      - 2
      - 0
    .max_flat_workgroup_size: 256
    .name:           _ZN9rocsparseL12ell2csr_fillILj256E21rocsparse_complex_numIfEilEEvT2_S3_S3_PKS3_PKT0_21rocsparse_index_base_PKT1_PS3_PS6_S9_
    .private_segment_fixed_size: 0
    .sgpr_count:     28
    .sgpr_spill_count: 0
    .symbol:         _ZN9rocsparseL12ell2csr_fillILj256E21rocsparse_complex_numIfEilEEvT2_S3_S3_PKS3_PKT0_21rocsparse_index_base_PKT1_PS3_PS6_S9_.kd
    .uniform_work_group_size: 1
    .uses_dynamic_stack: false
    .vgpr_count:     13
    .vgpr_spill_count: 0
    .wavefront_size: 64
  - .agpr_count:     0
    .args:
      - .offset:         0
        .size:           8
        .value_kind:     by_value
      - .offset:         8
        .size:           8
        .value_kind:     by_value
      - .offset:         16
        .size:           8
        .value_kind:     by_value
      - .actual_access:  read_only
        .address_space:  global
        .offset:         24
        .size:           8
        .value_kind:     global_buffer
      - .actual_access:  read_only
        .address_space:  global
        .offset:         32
        .size:           8
        .value_kind:     global_buffer
      - .offset:         40
        .size:           4
        .value_kind:     by_value
      - .actual_access:  read_only
        .address_space:  global
        .offset:         48
        .size:           8
        .value_kind:     global_buffer
      - .actual_access:  write_only
        .address_space:  global
        .offset:         56
        .size:           8
        .value_kind:     global_buffer
      - .actual_access:  write_only
        .address_space:  global
        .offset:         64
        .size:           8
        .value_kind:     global_buffer
      - .offset:         72
        .size:           4
        .value_kind:     by_value
    .group_segment_fixed_size: 0
    .kernarg_segment_align: 8
    .kernarg_segment_size: 76
    .language:       OpenCL C
    .language_version:
      - 2
      - 0
    .max_flat_workgroup_size: 256
    .name:           _ZN9rocsparseL12ell2csr_fillILj256EdilEEvT2_S1_S1_PKS1_PKT0_21rocsparse_index_base_PKT1_PS1_PS4_S7_
    .private_segment_fixed_size: 0
    .sgpr_count:     28
    .sgpr_spill_count: 0
    .symbol:         _ZN9rocsparseL12ell2csr_fillILj256EdilEEvT2_S1_S1_PKS1_PKT0_21rocsparse_index_base_PKT1_PS1_PS4_S7_.kd
    .uniform_work_group_size: 1
    .uses_dynamic_stack: false
    .vgpr_count:     13
    .vgpr_spill_count: 0
    .wavefront_size: 64
  - .agpr_count:     0
    .args:
      - .offset:         0
        .size:           8
        .value_kind:     by_value
      - .offset:         8
        .size:           8
        .value_kind:     by_value
      - .offset:         16
        .size:           8
        .value_kind:     by_value
      - .actual_access:  read_only
        .address_space:  global
        .offset:         24
        .size:           8
        .value_kind:     global_buffer
      - .actual_access:  read_only
        .address_space:  global
        .offset:         32
        .size:           8
        .value_kind:     global_buffer
      - .offset:         40
        .size:           4
        .value_kind:     by_value
      - .actual_access:  read_only
        .address_space:  global
        .offset:         48
        .size:           8
        .value_kind:     global_buffer
      - .actual_access:  write_only
        .address_space:  global
        .offset:         56
        .size:           8
        .value_kind:     global_buffer
      - .actual_access:  write_only
        .address_space:  global
        .offset:         64
        .size:           8
        .value_kind:     global_buffer
      - .offset:         72
        .size:           4
        .value_kind:     by_value
    .group_segment_fixed_size: 0
    .kernarg_segment_align: 8
    .kernarg_segment_size: 76
    .language:       OpenCL C
    .language_version:
      - 2
      - 0
    .max_flat_workgroup_size: 256
    .name:           _ZN9rocsparseL12ell2csr_fillILj256E21rocsparse_complex_numIdEilEEvT2_S3_S3_PKS3_PKT0_21rocsparse_index_base_PKT1_PS3_PS6_S9_
    .private_segment_fixed_size: 0
    .sgpr_count:     28
    .sgpr_spill_count: 0
    .symbol:         _ZN9rocsparseL12ell2csr_fillILj256E21rocsparse_complex_numIdEilEEvT2_S3_S3_PKS3_PKT0_21rocsparse_index_base_PKT1_PS3_PS6_S9_.kd
    .uniform_work_group_size: 1
    .uses_dynamic_stack: false
    .vgpr_count:     17
    .vgpr_spill_count: 0
    .wavefront_size: 64
  - .agpr_count:     0
    .args:
      - .offset:         0
        .size:           8
        .value_kind:     by_value
      - .offset:         8
        .size:           8
        .value_kind:     by_value
      - .offset:         16
        .size:           8
        .value_kind:     by_value
      - .actual_access:  read_only
        .address_space:  global
        .offset:         24
        .size:           8
        .value_kind:     global_buffer
      - .actual_access:  read_only
        .address_space:  global
        .offset:         32
        .size:           8
        .value_kind:     global_buffer
      - .offset:         40
        .size:           4
        .value_kind:     by_value
      - .actual_access:  read_only
        .address_space:  global
        .offset:         48
        .size:           8
        .value_kind:     global_buffer
      - .actual_access:  write_only
        .address_space:  global
        .offset:         56
        .size:           8
        .value_kind:     global_buffer
      - .actual_access:  write_only
        .address_space:  global
        .offset:         64
        .size:           8
        .value_kind:     global_buffer
      - .offset:         72
        .size:           4
        .value_kind:     by_value
    .group_segment_fixed_size: 0
    .kernarg_segment_align: 8
    .kernarg_segment_size: 76
    .language:       OpenCL C
    .language_version:
      - 2
      - 0
    .max_flat_workgroup_size: 256
    .name:           _ZN9rocsparseL12ell2csr_fillILj256EfllEEvT2_S1_S1_PKS1_PKT0_21rocsparse_index_base_PKT1_PS1_PS4_S7_
    .private_segment_fixed_size: 0
    .sgpr_count:     32
    .sgpr_spill_count: 0
    .symbol:         _ZN9rocsparseL12ell2csr_fillILj256EfllEEvT2_S1_S1_PKS1_PKT0_21rocsparse_index_base_PKT1_PS1_PS4_S7_.kd
    .uniform_work_group_size: 1
    .uses_dynamic_stack: false
    .vgpr_count:     19
    .vgpr_spill_count: 0
    .wavefront_size: 64
  - .agpr_count:     0
    .args:
      - .offset:         0
        .size:           8
        .value_kind:     by_value
      - .offset:         8
        .size:           8
        .value_kind:     by_value
      - .offset:         16
        .size:           8
        .value_kind:     by_value
      - .actual_access:  read_only
        .address_space:  global
        .offset:         24
        .size:           8
        .value_kind:     global_buffer
      - .actual_access:  read_only
        .address_space:  global
        .offset:         32
        .size:           8
        .value_kind:     global_buffer
      - .offset:         40
        .size:           4
        .value_kind:     by_value
      - .actual_access:  read_only
        .address_space:  global
        .offset:         48
        .size:           8
        .value_kind:     global_buffer
      - .actual_access:  write_only
        .address_space:  global
        .offset:         56
        .size:           8
        .value_kind:     global_buffer
      - .actual_access:  write_only
        .address_space:  global
        .offset:         64
        .size:           8
        .value_kind:     global_buffer
      - .offset:         72
        .size:           4
        .value_kind:     by_value
    .group_segment_fixed_size: 0
    .kernarg_segment_align: 8
    .kernarg_segment_size: 76
    .language:       OpenCL C
    .language_version:
      - 2
      - 0
    .max_flat_workgroup_size: 256
    .name:           _ZN9rocsparseL12ell2csr_fillILj256E21rocsparse_complex_numIfEllEEvT2_S3_S3_PKS3_PKT0_21rocsparse_index_base_PKT1_PS3_PS6_S9_
    .private_segment_fixed_size: 0
    .sgpr_count:     30
    .sgpr_spill_count: 0
    .symbol:         _ZN9rocsparseL12ell2csr_fillILj256E21rocsparse_complex_numIfEllEEvT2_S3_S3_PKS3_PKT0_21rocsparse_index_base_PKT1_PS3_PS6_S9_.kd
    .uniform_work_group_size: 1
    .uses_dynamic_stack: false
    .vgpr_count:     18
    .vgpr_spill_count: 0
    .wavefront_size: 64
  - .agpr_count:     0
    .args:
      - .offset:         0
        .size:           8
        .value_kind:     by_value
      - .offset:         8
        .size:           8
        .value_kind:     by_value
      - .offset:         16
        .size:           8
        .value_kind:     by_value
      - .actual_access:  read_only
        .address_space:  global
        .offset:         24
        .size:           8
        .value_kind:     global_buffer
      - .actual_access:  read_only
        .address_space:  global
        .offset:         32
        .size:           8
        .value_kind:     global_buffer
      - .offset:         40
        .size:           4
        .value_kind:     by_value
      - .actual_access:  read_only
        .address_space:  global
        .offset:         48
        .size:           8
        .value_kind:     global_buffer
      - .actual_access:  write_only
        .address_space:  global
        .offset:         56
        .size:           8
        .value_kind:     global_buffer
      - .actual_access:  write_only
        .address_space:  global
        .offset:         64
        .size:           8
        .value_kind:     global_buffer
      - .offset:         72
        .size:           4
        .value_kind:     by_value
    .group_segment_fixed_size: 0
    .kernarg_segment_align: 8
    .kernarg_segment_size: 76
    .language:       OpenCL C
    .language_version:
      - 2
      - 0
    .max_flat_workgroup_size: 256
    .name:           _ZN9rocsparseL12ell2csr_fillILj256EdllEEvT2_S1_S1_PKS1_PKT0_21rocsparse_index_base_PKT1_PS1_PS4_S7_
    .private_segment_fixed_size: 0
    .sgpr_count:     30
    .sgpr_spill_count: 0
    .symbol:         _ZN9rocsparseL12ell2csr_fillILj256EdllEEvT2_S1_S1_PKS1_PKT0_21rocsparse_index_base_PKT1_PS1_PS4_S7_.kd
    .uniform_work_group_size: 1
    .uses_dynamic_stack: false
    .vgpr_count:     18
    .vgpr_spill_count: 0
    .wavefront_size: 64
  - .agpr_count:     0
    .args:
      - .offset:         0
        .size:           8
        .value_kind:     by_value
      - .offset:         8
        .size:           8
        .value_kind:     by_value
      - .offset:         16
        .size:           8
        .value_kind:     by_value
      - .actual_access:  read_only
        .address_space:  global
        .offset:         24
        .size:           8
        .value_kind:     global_buffer
      - .actual_access:  read_only
        .address_space:  global
        .offset:         32
        .size:           8
        .value_kind:     global_buffer
      - .offset:         40
        .size:           4
        .value_kind:     by_value
      - .actual_access:  read_only
        .address_space:  global
        .offset:         48
        .size:           8
        .value_kind:     global_buffer
      - .actual_access:  write_only
        .address_space:  global
        .offset:         56
        .size:           8
        .value_kind:     global_buffer
      - .actual_access:  write_only
        .address_space:  global
        .offset:         64
        .size:           8
        .value_kind:     global_buffer
      - .offset:         72
        .size:           4
        .value_kind:     by_value
    .group_segment_fixed_size: 0
    .kernarg_segment_align: 8
    .kernarg_segment_size: 76
    .language:       OpenCL C
    .language_version:
      - 2
      - 0
    .max_flat_workgroup_size: 256
    .name:           _ZN9rocsparseL12ell2csr_fillILj256E21rocsparse_complex_numIdEllEEvT2_S3_S3_PKS3_PKT0_21rocsparse_index_base_PKT1_PS3_PS6_S9_
    .private_segment_fixed_size: 0
    .sgpr_count:     32
    .sgpr_spill_count: 0
    .symbol:         _ZN9rocsparseL12ell2csr_fillILj256E21rocsparse_complex_numIdEllEEvT2_S3_S3_PKS3_PKT0_21rocsparse_index_base_PKT1_PS3_PS6_S9_.kd
    .uniform_work_group_size: 1
    .uses_dynamic_stack: false
    .vgpr_count:     22
    .vgpr_spill_count: 0
    .wavefront_size: 64
  - .agpr_count:     0
    .args:
      - .offset:         0
        .size:           4
        .value_kind:     by_value
      - .offset:         4
        .size:           4
        .value_kind:     by_value
      - .offset:         8
        .size:           4
        .value_kind:     by_value
      - .actual_access:  read_only
        .address_space:  global
        .offset:         16
        .size:           8
        .value_kind:     global_buffer
      - .offset:         24
        .size:           4
        .value_kind:     by_value
      - .actual_access:  write_only
        .address_space:  global
        .offset:         32
        .size:           8
        .value_kind:     global_buffer
      - .offset:         40
        .size:           4
        .value_kind:     by_value
    .group_segment_fixed_size: 0
    .kernarg_segment_align: 8
    .kernarg_segment_size: 44
    .language:       OpenCL C
    .language_version:
      - 2
      - 0
    .max_flat_workgroup_size: 256
    .name:           _ZN9rocsparseL19ell2csr_nnz_per_rowILj256EiiEEvT1_S1_S1_PKS1_21rocsparse_index_base_PT0_S4_
    .private_segment_fixed_size: 0
    .sgpr_count:     22
    .sgpr_spill_count: 0
    .symbol:         _ZN9rocsparseL19ell2csr_nnz_per_rowILj256EiiEEvT1_S1_S1_PKS1_21rocsparse_index_base_PT0_S4_.kd
    .uniform_work_group_size: 1
    .uses_dynamic_stack: false
    .vgpr_count:     6
    .vgpr_spill_count: 0
    .wavefront_size: 64
  - .agpr_count:     0
    .args:
      - .address_space:  global
        .offset:         0
        .size:           8
        .value_kind:     global_buffer
    .group_segment_fixed_size: 0
    .kernarg_segment_align: 8
    .kernarg_segment_size: 8
    .language:       OpenCL C
    .language_version:
      - 2
      - 0
    .max_flat_workgroup_size: 1
    .name:           _ZN9rocsparseL18ell2csr_index_baseILj1EiEEvPT0_
    .private_segment_fixed_size: 0
    .sgpr_count:     10
    .sgpr_spill_count: 0
    .symbol:         _ZN9rocsparseL18ell2csr_index_baseILj1EiEEvPT0_.kd
    .uniform_work_group_size: 1
    .uses_dynamic_stack: false
    .vgpr_count:     2
    .vgpr_spill_count: 0
    .wavefront_size: 64
  - .agpr_count:     0
    .args:
      - .offset:         0
        .size:           4
        .value_kind:     by_value
      - .offset:         4
        .size:           4
        .value_kind:     by_value
      - .offset:         8
        .size:           4
        .value_kind:     by_value
      - .actual_access:  read_only
        .address_space:  global
        .offset:         16
        .size:           8
        .value_kind:     global_buffer
      - .offset:         24
        .size:           4
        .value_kind:     by_value
      - .actual_access:  write_only
        .address_space:  global
        .offset:         32
        .size:           8
        .value_kind:     global_buffer
      - .offset:         40
        .size:           4
        .value_kind:     by_value
    .group_segment_fixed_size: 0
    .kernarg_segment_align: 8
    .kernarg_segment_size: 44
    .language:       OpenCL C
    .language_version:
      - 2
      - 0
    .max_flat_workgroup_size: 256
    .name:           _ZN9rocsparseL19ell2csr_nnz_per_rowILj256EliEEvT1_S1_S1_PKS1_21rocsparse_index_base_PT0_S4_
    .private_segment_fixed_size: 0
    .sgpr_count:     24
    .sgpr_spill_count: 0
    .symbol:         _ZN9rocsparseL19ell2csr_nnz_per_rowILj256EliEEvT1_S1_S1_PKS1_21rocsparse_index_base_PT0_S4_.kd
    .uniform_work_group_size: 1
    .uses_dynamic_stack: false
    .vgpr_count:     6
    .vgpr_spill_count: 0
    .wavefront_size: 64
  - .agpr_count:     0
    .args:
      - .address_space:  global
        .offset:         0
        .size:           8
        .value_kind:     global_buffer
    .group_segment_fixed_size: 0
    .kernarg_segment_align: 8
    .kernarg_segment_size: 8
    .language:       OpenCL C
    .language_version:
      - 2
      - 0
    .max_flat_workgroup_size: 1
    .name:           _ZN9rocsparseL18ell2csr_index_baseILj1ElEEvPT0_
    .private_segment_fixed_size: 0
    .sgpr_count:     10
    .sgpr_spill_count: 0
    .symbol:         _ZN9rocsparseL18ell2csr_index_baseILj1ElEEvPT0_.kd
    .uniform_work_group_size: 1
    .uses_dynamic_stack: false
    .vgpr_count:     3
    .vgpr_spill_count: 0
    .wavefront_size: 64
  - .agpr_count:     0
    .args:
      - .offset:         0
        .size:           8
        .value_kind:     by_value
      - .offset:         8
        .size:           8
        .value_kind:     by_value
      - .offset:         16
        .size:           8
        .value_kind:     by_value
      - .actual_access:  read_only
        .address_space:  global
        .offset:         24
        .size:           8
        .value_kind:     global_buffer
      - .offset:         32
        .size:           4
        .value_kind:     by_value
      - .actual_access:  write_only
        .address_space:  global
        .offset:         40
        .size:           8
        .value_kind:     global_buffer
      - .offset:         48
        .size:           4
        .value_kind:     by_value
    .group_segment_fixed_size: 0
    .kernarg_segment_align: 8
    .kernarg_segment_size: 52
    .language:       OpenCL C
    .language_version:
      - 2
      - 0
    .max_flat_workgroup_size: 256
    .name:           _ZN9rocsparseL19ell2csr_nnz_per_rowILj256EilEEvT1_S1_S1_PKS1_21rocsparse_index_base_PT0_S4_
    .private_segment_fixed_size: 0
    .sgpr_count:     24
    .sgpr_spill_count: 0
    .symbol:         _ZN9rocsparseL19ell2csr_nnz_per_rowILj256EilEEvT1_S1_S1_PKS1_21rocsparse_index_base_PT0_S4_.kd
    .uniform_work_group_size: 1
    .uses_dynamic_stack: false
    .vgpr_count:     10
    .vgpr_spill_count: 0
    .wavefront_size: 64
  - .agpr_count:     0
    .args:
      - .offset:         0
        .size:           8
        .value_kind:     by_value
      - .offset:         8
        .size:           8
        .value_kind:     by_value
      - .offset:         16
        .size:           8
        .value_kind:     by_value
      - .actual_access:  read_only
        .address_space:  global
        .offset:         24
        .size:           8
        .value_kind:     global_buffer
      - .offset:         32
        .size:           4
        .value_kind:     by_value
      - .actual_access:  write_only
        .address_space:  global
        .offset:         40
        .size:           8
        .value_kind:     global_buffer
      - .offset:         48
        .size:           4
        .value_kind:     by_value
    .group_segment_fixed_size: 0
    .kernarg_segment_align: 8
    .kernarg_segment_size: 52
    .language:       OpenCL C
    .language_version:
      - 2
      - 0
    .max_flat_workgroup_size: 256
    .name:           _ZN9rocsparseL19ell2csr_nnz_per_rowILj256EllEEvT1_S1_S1_PKS1_21rocsparse_index_base_PT0_S4_
    .private_segment_fixed_size: 0
    .sgpr_count:     24
    .sgpr_spill_count: 0
    .symbol:         _ZN9rocsparseL19ell2csr_nnz_per_rowILj256EllEEvT1_S1_S1_PKS1_21rocsparse_index_base_PT0_S4_.kd
    .uniform_work_group_size: 1
    .uses_dynamic_stack: false
    .vgpr_count:     10
    .vgpr_spill_count: 0
    .wavefront_size: 64
amdhsa.target:   amdgcn-amd-amdhsa--gfx90a
amdhsa.version:
  - 1
  - 2
...

	.end_amdgpu_metadata
